;; amdgpu-corpus repo=ROCm/rocFFT kind=compiled arch=gfx906 opt=O3
	.text
	.amdgcn_target "amdgcn-amd-amdhsa--gfx906"
	.amdhsa_code_object_version 6
	.protected	bluestein_single_fwd_len840_dim1_sp_op_CI_CI ; -- Begin function bluestein_single_fwd_len840_dim1_sp_op_CI_CI
	.globl	bluestein_single_fwd_len840_dim1_sp_op_CI_CI
	.p2align	8
	.type	bluestein_single_fwd_len840_dim1_sp_op_CI_CI,@function
bluestein_single_fwd_len840_dim1_sp_op_CI_CI: ; @bluestein_single_fwd_len840_dim1_sp_op_CI_CI
; %bb.0:
	s_load_dwordx4 s[8:11], s[4:5], 0x28
	v_mul_u32_u24_e32 v1, 0x493, v0
	v_add_u32_sdwa v124, s6, v1 dst_sel:DWORD dst_unused:UNUSED_PAD src0_sel:DWORD src1_sel:WORD_1
	v_mov_b32_e32 v125, 0
	s_waitcnt lgkmcnt(0)
	v_cmp_gt_u64_e32 vcc, s[8:9], v[124:125]
	s_and_saveexec_b64 s[0:1], vcc
	s_cbranch_execz .LBB0_39
; %bb.1:
	s_load_dwordx4 s[12:15], s[4:5], 0x18
	v_mov_b32_e32 v2, 56
	v_mul_lo_u16_sdwa v1, v1, v2 dst_sel:DWORD dst_unused:UNUSED_PAD src0_sel:WORD_1 src1_sel:DWORD
	v_sub_u16_e32 v142, v0, v1
	v_lshlrev_b32_e32 v141, 3, v142
	s_waitcnt lgkmcnt(0)
	s_load_dwordx4 s[0:3], s[12:13], 0x0
	s_waitcnt lgkmcnt(0)
	v_mad_u64_u32 v[0:1], s[6:7], s2, v124, 0
	v_mad_u64_u32 v[2:3], s[6:7], s0, v142, 0
	s_load_dwordx2 s[12:13], s[4:5], 0x0
	s_mul_i32 s6, s1, 0x1a4
	v_mad_u64_u32 v[4:5], s[2:3], s3, v124, v[1:2]
	s_mul_hi_u32 s7, s0, 0x1a4
	s_add_i32 s7, s7, s6
	v_mad_u64_u32 v[5:6], s[2:3], s1, v142, v[3:4]
	v_mov_b32_e32 v1, v4
	v_lshlrev_b64 v[0:1], 3, v[0:1]
	v_mov_b32_e32 v6, s11
	v_mov_b32_e32 v3, v5
	v_add_co_u32_e32 v4, vcc, s10, v0
	v_addc_co_u32_e32 v5, vcc, v6, v1, vcc
	v_lshlrev_b64 v[0:1], 3, v[2:3]
	s_mul_i32 s6, s0, 0x1a4
	v_add_co_u32_e32 v0, vcc, v4, v0
	s_waitcnt lgkmcnt(0)
	v_mov_b32_e32 v2, s13
	v_add_co_u32_e64 v104, s[2:3], s12, v141
	s_lshl_b64 s[16:17], s[6:7], 3
	s_mul_hi_u32 s6, s0, 0xfffffe94
	v_addc_co_u32_e32 v1, vcc, v5, v1, vcc
	v_addc_co_u32_e64 v105, vcc, 0, v2, s[2:3]
	s_mulk_i32 s1, 0xfe94
	s_sub_i32 s6, s6, s0
	v_mov_b32_e32 v30, s17
	v_add_co_u32_e32 v2, vcc, s16, v0
	s_add_i32 s1, s6, s1
	s_mulk_i32 s0, 0xfe94
	v_addc_co_u32_e32 v3, vcc, v1, v30, vcc
	s_lshl_b64 s[18:19], s[0:1], 3
	v_mov_b32_e32 v28, s19
	v_add_co_u32_e32 v4, vcc, s18, v2
	v_addc_co_u32_e32 v5, vcc, v3, v28, vcc
	v_add_co_u32_e32 v6, vcc, s16, v4
	v_addc_co_u32_e32 v7, vcc, v5, v30, vcc
	global_load_dwordx2 v[131:132], v141, s[12:13] offset:3360
	global_load_dwordx2 v[133:134], v141, s[12:13]
	global_load_dwordx2 v[129:130], v141, s[12:13] offset:448
	global_load_dwordx2 v[8:9], v[0:1], off
	global_load_dwordx2 v[10:11], v[2:3], off
	;; [unrolled: 1-line block ×4, first 2 shown]
	global_load_dwordx2 v[125:126], v141, s[12:13] offset:3808
	v_add_co_u32_e32 v0, vcc, s18, v6
	v_addc_co_u32_e32 v1, vcc, v7, v28, vcc
	global_load_dwordx2 v[2:3], v[0:1], off
	v_add_co_u32_e32 v0, vcc, s16, v0
	v_addc_co_u32_e32 v1, vcc, v1, v30, vcc
	s_movk_i32 s0, 0x1000
	v_add_co_u32_e32 v6, vcc, s0, v104
	v_addc_co_u32_e32 v7, vcc, 0, v105, vcc
	global_load_dwordx2 v[4:5], v[0:1], off
	v_add_co_u32_e32 v0, vcc, s18, v0
	v_addc_co_u32_e32 v1, vcc, v1, v28, vcc
	global_load_dwordx2 v[122:123], v[6:7], off offset:160
	global_load_dwordx2 v[127:128], v141, s[12:13] offset:896
	global_load_dwordx2 v[16:17], v[0:1], off
	global_load_dwordx2 v[120:121], v141, s[12:13] offset:1344
	v_add_co_u32_e32 v0, vcc, s16, v0
	v_addc_co_u32_e32 v1, vcc, v1, v30, vcc
	global_load_dwordx2 v[18:19], v[0:1], off
	global_load_dwordx2 v[118:119], v[6:7], off offset:608
	v_add_co_u32_e32 v0, vcc, s18, v0
	v_addc_co_u32_e32 v1, vcc, v1, v28, vcc
	global_load_dwordx2 v[20:21], v[0:1], off
	global_load_dwordx2 v[116:117], v141, s[12:13] offset:1792
	v_add_co_u32_e32 v0, vcc, s16, v0
	v_addc_co_u32_e32 v1, vcc, v1, v30, vcc
	global_load_dwordx2 v[22:23], v[0:1], off
	global_load_dwordx2 v[114:115], v[6:7], off offset:1056
	v_add_co_u32_e32 v0, vcc, s18, v0
	v_addc_co_u32_e32 v1, vcc, v1, v28, vcc
	global_load_dwordx2 v[24:25], v[0:1], off
	global_load_dwordx2 v[112:113], v141, s[12:13] offset:2240
	v_add_co_u32_e32 v0, vcc, s16, v0
	v_addc_co_u32_e32 v1, vcc, v1, v30, vcc
	global_load_dwordx2 v[26:27], v[0:1], off
	global_load_dwordx2 v[110:111], v[6:7], off offset:1504
	v_add_co_u32_e32 v0, vcc, s18, v0
	v_addc_co_u32_e32 v1, vcc, v1, v28, vcc
	global_load_dwordx2 v[28:29], v[0:1], off
	global_load_dwordx2 v[108:109], v141, s[12:13] offset:2688
	v_add_co_u32_e32 v0, vcc, s16, v0
	v_addc_co_u32_e32 v1, vcc, v1, v30, vcc
	global_load_dwordx2 v[30:31], v[0:1], off
	global_load_dwordx2 v[106:107], v[6:7], off offset:1952
	s_load_dwordx2 s[6:7], s[4:5], 0x38
	s_load_dwordx4 s[8:11], s[14:15], 0x0
	v_cmp_gt_u16_e64 s[0:1], 28, v142
	s_waitcnt vmcnt(24)
	v_mul_f32_e32 v6, v9, v134
	v_mul_f32_e32 v7, v8, v134
	v_fmac_f32_e32 v6, v8, v133
	v_fma_f32 v7, v9, v133, -v7
	s_waitcnt vmcnt(23)
	v_mul_f32_e32 v8, v11, v132
	v_mul_f32_e32 v9, v10, v132
	v_fmac_f32_e32 v8, v10, v131
	v_fma_f32 v9, v11, v131, -v9
	ds_write_b64 v141, v[8:9] offset:3360
	s_waitcnt vmcnt(22)
	v_mul_f32_e32 v8, v13, v130
	v_mul_f32_e32 v9, v12, v130
	v_fmac_f32_e32 v8, v12, v129
	v_fma_f32 v9, v13, v129, -v9
	ds_write2_b64 v141, v[6:7], v[8:9] offset1:56
	s_waitcnt vmcnt(20)
	v_mul_f32_e32 v6, v15, v126
	v_mul_f32_e32 v7, v14, v126
	v_fmac_f32_e32 v6, v14, v125
	v_fma_f32 v7, v15, v125, -v7
	v_add_u32_e32 v8, 0xc00, v141
	v_add_u32_e32 v12, 0x1000, v141
	s_waitcnt vmcnt(16)
	v_mul_f32_e32 v9, v3, v128
	v_fmac_f32_e32 v9, v2, v127
	v_mul_f32_e32 v2, v2, v128
	v_fma_f32 v10, v3, v127, -v2
	v_mul_f32_e32 v2, v5, v123
	v_mul_f32_e32 v3, v4, v123
	v_fmac_f32_e32 v2, v4, v122
	v_fma_f32 v3, v5, v122, -v3
	ds_write2_b64 v8, v[6:7], v[2:3] offset0:92 offset1:148
	s_waitcnt vmcnt(14)
	v_mul_f32_e32 v2, v17, v121
	v_mul_f32_e32 v3, v16, v121
	v_fmac_f32_e32 v2, v16, v120
	v_fma_f32 v3, v17, v120, -v3
	ds_write2_b64 v141, v[9:10], v[2:3] offset0:112 offset1:168
	s_waitcnt vmcnt(12)
	v_mul_f32_e32 v2, v19, v119
	v_mul_f32_e32 v3, v18, v119
	v_fmac_f32_e32 v2, v18, v118
	s_waitcnt vmcnt(8)
	v_mul_f32_e32 v6, v23, v115
	v_mul_f32_e32 v7, v22, v115
	v_fma_f32 v3, v19, v118, -v3
	v_fmac_f32_e32 v6, v22, v114
	v_fma_f32 v7, v23, v114, -v7
	v_mul_f32_e32 v4, v21, v117
	v_mul_f32_e32 v5, v20, v117
	ds_write2_b64 v12, v[2:3], v[6:7] offset0:76 offset1:132
	s_waitcnt vmcnt(6)
	v_mul_f32_e32 v2, v25, v113
	v_mul_f32_e32 v3, v24, v113
	v_fmac_f32_e32 v4, v20, v116
	v_fma_f32 v5, v21, v116, -v5
	v_fmac_f32_e32 v2, v24, v112
	v_fma_f32 v3, v25, v112, -v3
	v_add_u32_e32 v9, 0x400, v141
	ds_write2_b64 v9, v[4:5], v[2:3] offset0:96 offset1:152
	s_waitcnt vmcnt(2)
	v_mul_f32_e32 v4, v29, v109
	v_mul_f32_e32 v5, v28, v109
	v_fmac_f32_e32 v4, v28, v108
	v_fma_f32 v5, v29, v108, -v5
	v_mul_f32_e32 v2, v27, v111
	v_mul_f32_e32 v3, v26, v111
	ds_write_b64 v141, v[4:5] offset:2688
	s_waitcnt vmcnt(0)
	v_mul_f32_e32 v4, v31, v107
	v_mul_f32_e32 v5, v30, v107
	v_fmac_f32_e32 v2, v26, v110
	v_fma_f32 v3, v27, v110, -v3
	v_fmac_f32_e32 v4, v30, v106
	v_fma_f32 v5, v31, v106, -v5
	ds_write2_b64 v12, v[2:3], v[4:5] offset0:188 offset1:244
	s_and_saveexec_b64 s[14:15], s[0:1]
	s_cbranch_execz .LBB0_3
; %bb.2:
	v_mov_b32_e32 v2, s19
	v_add_co_u32_e32 v0, vcc, s18, v0
	v_addc_co_u32_e32 v1, vcc, v1, v2, vcc
	global_load_dwordx2 v[2:3], v[0:1], off
	global_load_dwordx2 v[4:5], v[104:105], off offset:3136
	v_mov_b32_e32 v6, s17
	v_add_co_u32_e32 v0, vcc, s16, v0
	v_addc_co_u32_e32 v1, vcc, v1, v6, vcc
	v_add_co_u32_e32 v6, vcc, 0x1000, v104
	v_addc_co_u32_e32 v7, vcc, 0, v105, vcc
	global_load_dwordx2 v[10:11], v[6:7], off offset:2400
	global_load_dwordx2 v[13:14], v[0:1], off
	s_waitcnt vmcnt(2)
	v_mul_f32_e32 v0, v3, v5
	v_mul_f32_e32 v1, v2, v5
	v_fmac_f32_e32 v0, v2, v4
	v_fma_f32 v1, v3, v4, -v1
	ds_write_b64 v141, v[0:1] offset:3136
	s_waitcnt vmcnt(0)
	v_mul_f32_e32 v2, v14, v11
	v_mul_f32_e32 v3, v13, v11
	v_fmac_f32_e32 v2, v13, v10
	v_fma_f32 v3, v14, v10, -v3
	ds_write_b64 v141, v[2:3] offset:6496
.LBB0_3:
	s_or_b64 exec, exec, s[14:15]
	v_add_u32_e32 v0, 0x800, v141
	s_waitcnt lgkmcnt(0)
	; wave barrier
	s_waitcnt lgkmcnt(0)
	ds_read2_b64 v[4:7], v141 offset1:56
	ds_read2_b64 v[0:3], v0 offset0:80 offset1:164
	ds_read2_b64 v[24:27], v8 offset0:92 offset1:148
	;; [unrolled: 1-line block ×6, first 2 shown]
                                        ; implicit-def: $vgpr30
                                        ; implicit-def: $vgpr28
	s_and_saveexec_b64 s[14:15], s[0:1]
	s_cbranch_execz .LBB0_5
; %bb.4:
	ds_read_b64 v[28:29], v141 offset:3136
	ds_read_b64 v[30:31], v141 offset:6496
.LBB0_5:
	s_or_b64 exec, exec, s[14:15]
	s_load_dwordx2 s[14:15], s[4:5], 0x8
	s_movk_i32 s4, 0xe0
	s_waitcnt lgkmcnt(0)
	v_sub_f32_e32 v43, v6, v24
	v_sub_f32_e32 v44, v7, v25
	v_add_co_u32_e32 v32, vcc, 56, v142
	v_add_co_u32_e32 v176, vcc, 0x70, v142
	;; [unrolled: 1-line block ×3, first 2 shown]
	s_movk_i32 s4, 0x188
	v_sub_f32_e32 v38, v4, v2
	v_sub_f32_e32 v39, v5, v3
	v_fma_f32 v41, v6, 2.0, -v43
	v_fma_f32 v42, v7, 2.0, -v44
	v_sub_f32_e32 v6, v16, v26
	v_sub_f32_e32 v7, v17, v27
	v_add_co_u32_e32 v34, vcc, 0xa8, v142
	v_lshlrev_b32_e32 v35, 1, v142
	v_add_co_u32_e32 v40, vcc, s4, v142
	v_fma_f32 v36, v4, 2.0, -v38
	v_fma_f32 v37, v5, 2.0, -v39
	;; [unrolled: 1-line block ×4, first 2 shown]
	v_sub_f32_e32 v20, v18, v20
	v_sub_f32_e32 v21, v19, v21
	;; [unrolled: 1-line block ×10, first 2 shown]
	v_lshlrev_b32_e32 v145, 4, v142
	v_lshlrev_b32_e32 v146, 4, v32
	;; [unrolled: 1-line block ×3, first 2 shown]
	v_fma_f32 v18, v18, 2.0, -v20
	v_fma_f32 v19, v19, 2.0, -v21
	;; [unrolled: 1-line block ×10, first 2 shown]
	s_waitcnt lgkmcnt(0)
	; wave barrier
	ds_write_b128 v145, v[36:39]
	v_lshlrev_b32_e32 v36, 1, v32
	ds_write_b128 v146, v[41:44]
	v_lshlrev_b32_e32 v37, 1, v176
	;; [unrolled: 2-line block ×3, first 2 shown]
	v_lshlrev_b32_e32 v149, 4, v34
	v_lshlrev_b32_e32 v39, 1, v33
	;; [unrolled: 1-line block ×3, first 2 shown]
	v_add_u32_e32 v157, 0x230, v35
	v_lshlrev_b32_e32 v4, 3, v35
	v_add_u32_e32 v158, 0x2a0, v35
	v_lshlrev_b32_e32 v150, 4, v40
	ds_write_b128 v149, v[18:21]
	ds_write_b128 v151, v[22:25]
	ds_write_b128 v4, v[10:13] offset:4480
	ds_write_b128 v4, v[14:17] offset:5376
	s_and_saveexec_b64 s[4:5], s[0:1]
	s_cbranch_execz .LBB0_7
; %bb.6:
	ds_write_b128 v150, v[0:3]
.LBB0_7:
	s_or_b64 exec, exec, s[4:5]
	v_add_u32_e32 v4, 0x800, v141
	v_add_u32_e32 v12, 0xc00, v141
	;; [unrolled: 1-line block ×4, first 2 shown]
	s_waitcnt lgkmcnt(0)
	; wave barrier
	s_waitcnt lgkmcnt(0)
	ds_read2_b64 v[8:11], v141 offset1:56
	ds_read2_b64 v[4:7], v4 offset0:80 offset1:164
	ds_read2_b64 v[20:23], v12 offset0:92 offset1:148
	;; [unrolled: 1-line block ×6, first 2 shown]
	s_and_saveexec_b64 s[4:5], s[0:1]
	s_cbranch_execz .LBB0_9
; %bb.8:
	ds_read_b64 v[0:1], v141 offset:3136
	ds_read_b64 v[2:3], v141 offset:6496
.LBB0_9:
	s_or_b64 exec, exec, s[4:5]
	v_and_b32_e32 v143, 1, v142
	v_lshlrev_b32_e32 v41, 3, v143
	global_load_dwordx2 v[135:136], v41, s[14:15]
	s_movk_i32 s5, 0xfc
	s_movk_i32 s12, 0x1fc
	;; [unrolled: 1-line block ×4, first 2 shown]
	v_and_or_b32 v42, v36, s5, v143
	v_and_or_b32 v43, v37, s12, v143
	v_and_or_b32 v45, v39, s16, v143
	v_and_or_b32 v41, v35, s4, v143
	v_and_or_b32 v44, v38, s12, v143
	v_lshlrev_b32_e32 v155, 3, v42
	v_lshlrev_b32_e32 v154, 3, v43
	;; [unrolled: 1-line block ×5, first 2 shown]
	s_movk_i32 s4, 0x2fc
	v_lshlrev_b32_e32 v144, 1, v40
	s_waitcnt lgkmcnt(0)
	; wave barrier
	s_waitcnt vmcnt(0) lgkmcnt(0)
	v_mul_f32_e32 v52, v28, v136
	v_mul_f32_e32 v55, v3, v136
	;; [unrolled: 1-line block ×9, first 2 shown]
	v_fmac_f32_e32 v52, v29, v135
	v_fma_f32 v29, v2, v135, -v55
	v_mul_f32_e32 v41, v7, v136
	v_mul_f32_e32 v44, v20, v136
	;; [unrolled: 1-line block ×7, first 2 shown]
	v_fmac_f32_e32 v42, v7, v135
	v_fma_f32 v7, v20, v135, -v43
	v_fma_f32 v20, v22, v135, -v45
	;; [unrolled: 1-line block ×6, first 2 shown]
	v_sub_f32_e32 v30, v0, v29
	v_fma_f32 v6, v6, v135, -v41
	v_fmac_f32_e32 v54, v31, v135
	v_fmac_f32_e32 v56, v3, v135
	v_sub_f32_e32 v41, v4, v28
	v_fma_f32 v28, v0, 2.0, -v30
	v_and_or_b32 v0, v157, s4, v143
	v_fmac_f32_e32 v44, v21, v135
	v_fmac_f32_e32 v46, v23, v135
	;; [unrolled: 1-line block ×4, first 2 shown]
	v_sub_f32_e32 v2, v8, v6
	v_sub_f32_e32 v3, v9, v42
	;; [unrolled: 1-line block ×6, first 2 shown]
	v_lshlrev_b32_e32 v159, 3, v0
	v_and_or_b32 v0, v158, s16, v143
	v_sub_f32_e32 v6, v10, v7
	v_sub_f32_e32 v7, v11, v44
	;; [unrolled: 1-line block ×8, first 2 shown]
	v_fma_f32 v8, v8, 2.0, -v2
	v_fma_f32 v9, v9, 2.0, -v3
	;; [unrolled: 1-line block ×7, first 2 shown]
	v_lshlrev_b32_e32 v160, 3, v0
	v_fma_f32 v10, v10, 2.0, -v6
	v_fma_f32 v11, v11, 2.0, -v7
	;; [unrolled: 1-line block ×8, first 2 shown]
	ds_write2_b64 v156, v[8:9], v[2:3] offset1:2
	ds_write2_b64 v155, v[10:11], v[6:7] offset1:2
	;; [unrolled: 1-line block ×7, first 2 shown]
	s_and_saveexec_b64 s[4:5], s[0:1]
	s_cbranch_execz .LBB0_11
; %bb.10:
	s_movk_i32 s12, 0x37c
	v_and_or_b32 v0, v144, s12, v143
	v_lshlrev_b32_e32 v0, 3, v0
	ds_write2_b64 v0, v[28:29], v[30:31] offset1:2
.LBB0_11:
	s_or_b64 exec, exec, s[4:5]
	v_add_u32_e32 v0, 0x800, v141
	v_add_u32_e32 v8, 0xc00, v141
	;; [unrolled: 1-line block ×4, first 2 shown]
	s_waitcnt lgkmcnt(0)
	; wave barrier
	s_waitcnt lgkmcnt(0)
	ds_read2_b64 v[4:7], v141 offset1:56
	ds_read2_b64 v[0:3], v0 offset0:80 offset1:164
	ds_read2_b64 v[16:19], v8 offset0:92 offset1:148
	;; [unrolled: 1-line block ×6, first 2 shown]
	s_and_saveexec_b64 s[4:5], s[0:1]
	s_cbranch_execz .LBB0_13
; %bb.12:
	ds_read_b64 v[28:29], v141 offset:3136
	ds_read_b64 v[30:31], v141 offset:6496
.LBB0_13:
	s_or_b64 exec, exec, s[4:5]
	v_and_b32_e32 v147, 3, v142
	v_lshlrev_b32_e32 v40, 3, v147
	global_load_dwordx2 v[137:138], v40, s[14:15] offset:16
	s_movk_i32 s4, 0x78
	s_movk_i32 s5, 0xf8
	;; [unrolled: 1-line block ×4, first 2 shown]
	v_and_or_b32 v35, v35, s4, v147
	v_and_or_b32 v36, v36, s5, v147
	;; [unrolled: 1-line block ×5, first 2 shown]
	v_lshlrev_b32_e32 v165, 3, v35
	v_lshlrev_b32_e32 v164, 3, v36
	;; [unrolled: 1-line block ×5, first 2 shown]
	s_movk_i32 s17, 0x2f8
	s_waitcnt lgkmcnt(0)
	; wave barrier
	s_waitcnt vmcnt(0) lgkmcnt(0)
	v_mul_f32_e32 v35, v3, v138
	v_mul_f32_e32 v36, v2, v138
	;; [unrolled: 1-line block ×10, first 2 shown]
	v_fma_f32 v2, v2, v137, -v35
	v_fmac_f32_e32 v36, v3, v137
	v_fma_f32 v16, v16, v137, -v37
	v_fmac_f32_e32 v38, v17, v137
	;; [unrolled: 2-line block ×5, first 2 shown]
	v_sub_f32_e32 v2, v4, v2
	v_sub_f32_e32 v3, v5, v36
	v_mul_f32_e32 v45, v25, v138
	v_mul_f32_e32 v46, v24, v138
	;; [unrolled: 1-line block ×4, first 2 shown]
	v_sub_f32_e32 v16, v6, v16
	v_sub_f32_e32 v17, v7, v38
	;; [unrolled: 1-line block ×8, first 2 shown]
	v_fma_f32 v4, v4, 2.0, -v2
	v_fma_f32 v5, v5, 2.0, -v3
	v_mul_f32_e32 v49, v31, v138
	v_mul_f32_e32 v50, v30, v138
	v_fma_f32 v24, v24, v137, -v45
	v_fmac_f32_e32 v46, v25, v137
	v_fma_f32 v26, v26, v137, -v47
	v_fmac_f32_e32 v48, v27, v137
	v_fma_f32 v6, v6, 2.0, -v16
	v_fma_f32 v7, v7, 2.0, -v17
	;; [unrolled: 1-line block ×8, first 2 shown]
	ds_write2_b64 v165, v[4:5], v[2:3] offset1:4
	ds_write2_b64 v164, v[6:7], v[16:17] offset1:4
	;; [unrolled: 1-line block ×5, first 2 shown]
	v_and_or_b32 v2, v157, s17, v147
	v_fma_f32 v30, v30, v137, -v49
	v_fmac_f32_e32 v50, v31, v137
	v_sub_f32_e32 v24, v14, v24
	v_sub_f32_e32 v25, v15, v46
	;; [unrolled: 1-line block ×4, first 2 shown]
	v_lshlrev_b32_e32 v166, 3, v2
	v_and_or_b32 v2, v158, s16, v147
	v_sub_f32_e32 v66, v28, v30
	v_sub_f32_e32 v67, v29, v50
	v_fma_f32 v14, v14, 2.0, -v24
	v_fma_f32 v15, v15, 2.0, -v25
	v_fma_f32 v0, v0, 2.0, -v26
	v_fma_f32 v1, v1, 2.0, -v27
	v_lshlrev_b32_e32 v167, 3, v2
	ds_write2_b64 v166, v[14:15], v[24:25] offset1:4
	ds_write2_b64 v167, v[0:1], v[26:27] offset1:4
	s_and_saveexec_b64 s[4:5], s[0:1]
	s_cbranch_execz .LBB0_15
; %bb.14:
	s_movk_i32 s12, 0x378
	v_and_or_b32 v2, v144, s12, v147
	v_fma_f32 v1, v29, 2.0, -v67
	v_fma_f32 v0, v28, 2.0, -v66
	v_lshlrev_b32_e32 v2, 3, v2
	ds_write2_b64 v2, v[0:1], v[66:67] offset1:4
.LBB0_15:
	s_or_b64 exec, exec, s[4:5]
	v_and_b32_e32 v11, 7, v142
	v_lshlrev_b32_e32 v0, 4, v11
	s_waitcnt lgkmcnt(0)
	; wave barrier
	s_waitcnt lgkmcnt(0)
	global_load_dwordx4 v[12:15], v0, s[14:15] offset:48
	ds_read2_b64 v[3:6], v141 offset1:56
	v_add_u32_e32 v2, 0x400, v141
	v_add_u32_e32 v0, 0x1000, v141
	;; [unrolled: 1-line block ×3, first 2 shown]
	ds_read2_b64 v[7:10], v141 offset0:112 offset1:168
	ds_read_b64 v[39:40], v141 offset:6272
	ds_read2_b64 v[16:19], v2 offset0:96 offset1:152
	ds_read2_b64 v[20:23], v0 offset0:48 offset1:104
	;; [unrolled: 1-line block ×5, first 2 shown]
	s_waitcnt lgkmcnt(0)
	; wave barrier
	s_waitcnt lgkmcnt(0)
	s_movk_i32 s4, 0xab
                                        ; implicit-def: $vgpr98
                                        ; implicit-def: $vgpr102
                                        ; implicit-def: $vgpr139
	s_waitcnt vmcnt(0)
	v_mul_f32_e32 v42, v18, v13
	v_mul_f32_e32 v44, v20, v15
	;; [unrolled: 1-line block ×5, first 2 shown]
	v_fmac_f32_e32 v42, v19, v12
	v_fmac_f32_e32 v44, v21, v14
	v_mul_f32_e32 v45, v25, v13
	v_mul_f32_e32 v48, v22, v15
	v_fma_f32 v18, v18, v12, -v41
	v_fma_f32 v19, v20, v14, -v43
	v_fmac_f32_e32 v46, v25, v12
	v_add_f32_e32 v25, v42, v44
	v_mul_f32_e32 v47, v23, v15
	v_mul_f32_e32 v49, v27, v13
	;; [unrolled: 1-line block ×4, first 2 shown]
	v_fma_f32 v20, v24, v12, -v45
	v_fmac_f32_e32 v48, v23, v14
	v_add_f32_e32 v23, v18, v19
	v_add_f32_e32 v24, v4, v42
	v_fma_f32 v4, -0.5, v25, v4
	v_fma_f32 v21, v22, v14, -v47
	v_fma_f32 v41, v26, v12, -v49
	v_fmac_f32_e32 v50, v27, v12
	v_fma_f32 v43, v28, v14, -v51
	v_add_f32_e32 v22, v3, v18
	v_sub_f32_e32 v27, v18, v19
	v_fma_f32 v3, -0.5, v23, v3
	v_mov_b32_e32 v23, v4
	v_mul_f32_e32 v52, v28, v15
	v_sub_f32_e32 v26, v42, v44
	v_add_f32_e32 v18, v22, v19
	v_mov_b32_e32 v22, v3
	v_fmac_f32_e32 v4, 0x3f5db3d7, v27
	v_fmac_f32_e32 v23, 0xbf5db3d7, v27
	v_add_f32_e32 v27, v41, v43
	v_mul_f32_e32 v57, v38, v13
	v_fmac_f32_e32 v52, v29, v14
	v_add_f32_e32 v28, v5, v20
	v_add_f32_e32 v29, v20, v21
	v_fmac_f32_e32 v3, 0xbf5db3d7, v26
	v_fmac_f32_e32 v22, 0x3f5db3d7, v26
	v_add_f32_e32 v26, v7, v41
	v_fma_f32 v7, -0.5, v27, v7
	v_mul_f32_e32 v53, v36, v13
	v_mul_f32_e32 v54, v35, v13
	v_mul_f32_e32 v55, v31, v15
	v_mul_f32_e32 v56, v30, v15
	v_mul_f32_e32 v58, v37, v13
	v_fma_f32 v47, v37, v12, -v57
	v_sub_f32_e32 v37, v20, v21
	v_add_f32_e32 v20, v28, v21
	v_fma_f32 v5, -0.5, v29, v5
	v_sub_f32_e32 v27, v50, v52
	v_mov_b32_e32 v28, v7
	v_add_f32_e32 v29, v50, v52
	v_fma_f32 v45, v35, v12, -v53
	v_fmac_f32_e32 v54, v36, v12
	v_fma_f32 v36, v30, v14, -v55
	v_fmac_f32_e32 v56, v31, v14
	v_sub_f32_e32 v30, v46, v48
	v_add_f32_e32 v31, v6, v46
	v_add_f32_e32 v35, v46, v48
	;; [unrolled: 1-line block ×3, first 2 shown]
	v_mov_b32_e32 v24, v5
	v_fmac_f32_e32 v28, 0x3f5db3d7, v27
	v_fmac_f32_e32 v7, 0xbf5db3d7, v27
	v_add_f32_e32 v27, v8, v50
	v_fma_f32 v8, -0.5, v29, v8
	v_add_f32_e32 v21, v31, v48
	v_fmac_f32_e32 v6, -0.5, v35
	v_fmac_f32_e32 v5, 0xbf5db3d7, v30
	v_fmac_f32_e32 v24, 0x3f5db3d7, v30
	v_sub_f32_e32 v30, v41, v43
	v_mov_b32_e32 v29, v8
	v_add_f32_e32 v31, v45, v36
	v_mov_b32_e32 v25, v6
	v_fmac_f32_e32 v29, 0xbf5db3d7, v30
	v_fmac_f32_e32 v8, 0x3f5db3d7, v30
	v_add_f32_e32 v30, v9, v45
	v_fma_f32 v9, -0.5, v31, v9
	v_mul_f32_e32 v59, v40, v15
	v_fmac_f32_e32 v6, 0x3f5db3d7, v37
	v_fmac_f32_e32 v25, 0xbf5db3d7, v37
	v_sub_f32_e32 v31, v54, v56
	v_mov_b32_e32 v35, v9
	v_add_f32_e32 v37, v54, v56
	v_fma_f32 v49, v39, v14, -v59
	v_fmac_f32_e32 v35, 0x3f5db3d7, v31
	v_fmac_f32_e32 v9, 0xbf5db3d7, v31
	v_add_f32_e32 v31, v10, v54
	v_fmac_f32_e32 v10, -0.5, v37
	v_mul_f32_e32 v60, v39, v15
	v_fmac_f32_e32 v58, v38, v12
	v_add_f32_e32 v30, v30, v36
	v_sub_f32_e32 v37, v45, v36
	v_mov_b32_e32 v36, v10
	v_add_f32_e32 v38, v47, v49
	v_fmac_f32_e32 v60, v40, v14
	v_fmac_f32_e32 v36, 0xbf5db3d7, v37
	;; [unrolled: 1-line block ×3, first 2 shown]
	v_add_f32_e32 v37, v16, v47
	v_fma_f32 v16, -0.5, v38, v16
	v_sub_f32_e32 v38, v58, v60
	v_mov_b32_e32 v39, v16
	v_add_f32_e32 v40, v58, v60
	v_fmac_f32_e32 v39, 0x3f5db3d7, v38
	v_fmac_f32_e32 v16, 0xbf5db3d7, v38
	v_add_f32_e32 v38, v17, v58
	v_fmac_f32_e32 v17, -0.5, v40
	v_sub_f32_e32 v41, v47, v49
	v_mov_b32_e32 v40, v17
	v_fmac_f32_e32 v40, 0xbf5db3d7, v41
	v_fmac_f32_e32 v17, 0x3f5db3d7, v41
	v_lshrrev_b32_e32 v41, 3, v142
	v_mul_u32_u24_e32 v41, 24, v41
	v_or_b32_e32 v41, v41, v11
	v_lshlrev_b32_e32 v168, 3, v41
	ds_write2_b64 v168, v[18:19], v[22:23] offset1:8
	ds_write_b64 v168, v[3:4] offset:128
	v_lshrrev_b32_e32 v3, 3, v32
	v_mul_u32_u24_e32 v3, 24, v3
	v_or_b32_e32 v3, v3, v11
	v_lshlrev_b32_e32 v169, 3, v3
	v_lshrrev_b32_e32 v3, 3, v176
	v_mul_u32_u24_e32 v3, 24, v3
	v_or_b32_e32 v3, v3, v11
	v_lshlrev_b32_e32 v170, 3, v3
	;; [unrolled: 4-line block ×4, first 2 shown]
	v_mul_lo_u16_sdwa v3, v142, s4 dst_sel:DWORD dst_unused:UNUSED_PAD src0_sel:BYTE_0 src1_sel:DWORD
	v_lshrrev_b16_e32 v11, 12, v3
	v_mul_lo_u16_e32 v3, 24, v11
	v_sub_u16_e32 v3, v142, v3
	v_and_b32_e32 v62, 0xff, v3
	v_add_f32_e32 v26, v26, v43
	v_add_f32_e32 v27, v27, v52
	;; [unrolled: 1-line block ×5, first 2 shown]
	v_lshlrev_b32_e32 v3, 5, v62
	ds_write2_b64 v169, v[20:21], v[24:25] offset1:8
	ds_write_b64 v169, v[5:6] offset:128
	ds_write2_b64 v170, v[26:27], v[28:29] offset1:8
	ds_write_b64 v170, v[7:8] offset:128
	;; [unrolled: 2-line block ×4, first 2 shown]
	s_waitcnt lgkmcnt(0)
	; wave barrier
	s_waitcnt lgkmcnt(0)
	global_load_dwordx4 v[20:23], v3, s[14:15] offset:176
	global_load_dwordx4 v[16:19], v3, s[14:15] offset:192
	v_mul_lo_u16_sdwa v3, v32, s4 dst_sel:DWORD dst_unused:UNUSED_PAD src0_sel:BYTE_0 src1_sel:DWORD
	v_lshrrev_b16_e32 v63, 12, v3
	v_mul_lo_u16_e32 v3, 24, v63
	v_sub_u16_e32 v3, v32, v3
	v_and_b32_e32 v68, 0xff, v3
	v_lshlrev_b32_e32 v3, 5, v68
	global_load_dwordx4 v[28:31], v3, s[14:15] offset:176
	global_load_dwordx4 v[24:27], v3, s[14:15] offset:192
	v_mul_lo_u16_sdwa v3, v176, s4 dst_sel:DWORD dst_unused:UNUSED_PAD src0_sel:BYTE_0 src1_sel:DWORD
	v_lshrrev_b16_e32 v69, 12, v3
	v_mul_lo_u16_e32 v3, 24, v69
	v_sub_u16_e32 v3, v176, v3
	v_and_b32_e32 v70, 0xff, v3
	v_lshlrev_b32_e32 v3, 5, v70
	global_load_dwordx4 v[36:39], v3, s[14:15] offset:176
	global_load_dwordx4 v[32:35], v3, s[14:15] offset:192
	ds_read2_b64 v[3:6], v141 offset1:56
	ds_read2_b64 v[7:10], v141 offset0:112 offset1:168
	ds_read2_b64 v[40:43], v1 offset0:80 offset1:136
	;; [unrolled: 1-line block ×6, first 2 shown]
	ds_read_b64 v[60:61], v141 offset:6272
	v_mul_u32_u24_e32 v11, 0x78, v11
	v_add_lshl_u32 v173, v11, v62, 3
	s_waitcnt lgkmcnt(0)
	; wave barrier
	s_waitcnt lgkmcnt(0)
	v_cmp_gt_u16_e64 s[4:5], 8, v142
	s_waitcnt vmcnt(5)
	v_mul_f32_e32 v64, v10, v21
	v_fma_f32 v64, v9, v20, -v64
	v_mul_f32_e32 v65, v9, v21
	v_mul_f32_e32 v9, v41, v23
	v_fma_f32 v71, v40, v22, -v9
	s_waitcnt vmcnt(4)
	v_mul_f32_e32 v9, v47, v17
	v_fma_f32 v73, v46, v16, -v9
	v_mul_f32_e32 v46, v46, v17
	v_mul_f32_e32 v9, v49, v19
	v_fmac_f32_e32 v46, v47, v16
	v_fma_f32 v47, v48, v18, -v9
	s_waitcnt vmcnt(3)
	v_mul_f32_e32 v9, v53, v29
	v_fma_f32 v74, v52, v28, -v9
	v_mul_f32_e32 v75, v52, v29
	v_mul_f32_e32 v9, v43, v31
	v_fmac_f32_e32 v75, v53, v28
	v_fma_f32 v53, v42, v30, -v9
	s_waitcnt vmcnt(2)
	v_mul_f32_e32 v9, v57, v25
	v_fmac_f32_e32 v65, v10, v20
	v_mul_f32_e32 v48, v48, v19
	v_fma_f32 v77, v56, v24, -v9
	v_mul_f32_e32 v56, v56, v25
	v_mul_f32_e32 v9, v51, v27
	v_add_f32_e32 v10, v71, v73
	v_mul_f32_e32 v72, v40, v23
	v_fmac_f32_e32 v48, v49, v18
	v_fmac_f32_e32 v56, v57, v24
	v_fma_f32 v57, v50, v26, -v9
	s_waitcnt vmcnt(1)
	v_mul_f32_e32 v9, v55, v37
	v_fma_f32 v40, -0.5, v10, v3
	v_fmac_f32_e32 v72, v41, v22
	v_mul_f32_e32 v76, v42, v31
	v_fma_f32 v79, v54, v36, -v9
	v_mul_f32_e32 v9, v45, v39
	v_sub_f32_e32 v10, v65, v48
	v_mov_b32_e32 v42, v40
	v_fmac_f32_e32 v76, v43, v30
	v_fma_f32 v81, v44, v38, -v9
	v_mul_f32_e32 v82, v44, v39
	v_fmac_f32_e32 v42, 0x3f737871, v10
	v_sub_f32_e32 v41, v72, v46
	v_sub_f32_e32 v43, v64, v71
	;; [unrolled: 1-line block ×3, first 2 shown]
	v_fmac_f32_e32 v40, 0xbf737871, v10
	s_waitcnt vmcnt(0)
	v_mul_f32_e32 v9, v59, v33
	v_fmac_f32_e32 v42, 0x3f167918, v41
	v_add_f32_e32 v43, v43, v44
	v_fmac_f32_e32 v40, 0xbf167918, v41
	v_fma_f32 v83, v58, v32, -v9
	v_mul_f32_e32 v84, v58, v33
	v_mul_f32_e32 v9, v61, v35
	v_fmac_f32_e32 v42, 0x3e9e377a, v43
	v_fmac_f32_e32 v40, 0x3e9e377a, v43
	v_add_f32_e32 v43, v64, v47
	v_fmac_f32_e32 v84, v59, v32
	v_fma_f32 v59, v60, v34, -v9
	v_add_f32_e32 v9, v3, v64
	v_fma_f32 v3, -0.5, v43, v3
	v_mov_b32_e32 v44, v3
	v_fmac_f32_e32 v82, v45, v38
	v_add_f32_e32 v9, v9, v71
	v_fmac_f32_e32 v44, 0xbf737871, v41
	v_sub_f32_e32 v43, v71, v64
	v_sub_f32_e32 v45, v73, v47
	v_fmac_f32_e32 v3, 0x3f737871, v41
	v_add_f32_e32 v41, v72, v46
	v_add_f32_e32 v9, v9, v73
	v_fmac_f32_e32 v44, 0x3f167918, v10
	v_add_f32_e32 v43, v43, v45
	v_fmac_f32_e32 v3, 0xbf167918, v10
	v_fma_f32 v41, -0.5, v41, v4
	v_add_f32_e32 v9, v9, v47
	v_fmac_f32_e32 v44, 0x3e9e377a, v43
	v_fmac_f32_e32 v3, 0x3e9e377a, v43
	v_sub_f32_e32 v47, v64, v47
	v_mov_b32_e32 v43, v41
	v_mul_f32_e32 v78, v50, v27
	v_fmac_f32_e32 v43, 0xbf737871, v47
	v_sub_f32_e32 v49, v71, v73
	v_sub_f32_e32 v45, v65, v72
	;; [unrolled: 1-line block ×3, first 2 shown]
	v_fmac_f32_e32 v41, 0x3f737871, v47
	v_fmac_f32_e32 v43, 0xbf167918, v49
	v_add_f32_e32 v45, v45, v50
	v_fmac_f32_e32 v41, 0x3f167918, v49
	v_fmac_f32_e32 v43, 0x3e9e377a, v45
	v_fmac_f32_e32 v41, 0x3e9e377a, v45
	v_add_f32_e32 v45, v65, v48
	v_add_f32_e32 v10, v4, v65
	v_fma_f32 v4, -0.5, v45, v4
	v_mov_b32_e32 v45, v4
	v_add_f32_e32 v10, v10, v72
	v_fmac_f32_e32 v45, 0x3f737871, v49
	v_fmac_f32_e32 v4, 0xbf737871, v49
	v_add_f32_e32 v10, v10, v46
	v_fmac_f32_e32 v45, 0xbf167918, v47
	v_fmac_f32_e32 v4, 0x3f167918, v47
	v_add_f32_e32 v47, v53, v77
	v_fmac_f32_e32 v78, v51, v26
	v_add_f32_e32 v10, v10, v48
	v_sub_f32_e32 v50, v72, v65
	v_sub_f32_e32 v46, v46, v48
	v_fma_f32 v48, -0.5, v47, v5
	v_add_f32_e32 v46, v50, v46
	v_sub_f32_e32 v47, v75, v78
	v_mov_b32_e32 v50, v48
	v_fmac_f32_e32 v50, 0x3f737871, v47
	v_sub_f32_e32 v49, v76, v56
	v_sub_f32_e32 v51, v74, v53
	;; [unrolled: 1-line block ×3, first 2 shown]
	v_fmac_f32_e32 v48, 0xbf737871, v47
	v_fmac_f32_e32 v50, 0x3f167918, v49
	v_add_f32_e32 v51, v51, v52
	v_fmac_f32_e32 v48, 0xbf167918, v49
	v_fmac_f32_e32 v50, 0x3e9e377a, v51
	;; [unrolled: 1-line block ×3, first 2 shown]
	v_add_f32_e32 v51, v74, v57
	v_fmac_f32_e32 v45, 0x3e9e377a, v46
	v_fmac_f32_e32 v4, 0x3e9e377a, v46
	v_add_f32_e32 v46, v5, v74
	v_fma_f32 v5, -0.5, v51, v5
	v_mov_b32_e32 v52, v5
	v_mul_f32_e32 v80, v54, v37
	v_fmac_f32_e32 v52, 0xbf737871, v49
	v_sub_f32_e32 v51, v53, v74
	v_sub_f32_e32 v54, v77, v57
	v_fmac_f32_e32 v5, 0x3f737871, v49
	v_add_f32_e32 v49, v76, v56
	v_add_f32_e32 v46, v46, v53
	v_fmac_f32_e32 v52, 0x3f167918, v47
	v_add_f32_e32 v51, v51, v54
	v_fmac_f32_e32 v5, 0xbf167918, v47
	v_fma_f32 v49, -0.5, v49, v6
	v_add_f32_e32 v46, v46, v77
	v_fmac_f32_e32 v52, 0x3e9e377a, v51
	v_fmac_f32_e32 v5, 0x3e9e377a, v51
	v_sub_f32_e32 v54, v74, v57
	v_mov_b32_e32 v51, v49
	v_fmac_f32_e32 v80, v55, v36
	v_add_f32_e32 v46, v46, v57
	v_fmac_f32_e32 v51, 0xbf737871, v54
	v_sub_f32_e32 v55, v53, v77
	v_sub_f32_e32 v53, v75, v76
	;; [unrolled: 1-line block ×3, first 2 shown]
	v_fmac_f32_e32 v49, 0x3f737871, v54
	v_fmac_f32_e32 v51, 0xbf167918, v55
	v_add_f32_e32 v53, v53, v57
	v_fmac_f32_e32 v49, 0x3f167918, v55
	v_fmac_f32_e32 v51, 0x3e9e377a, v53
	v_fmac_f32_e32 v49, 0x3e9e377a, v53
	v_add_f32_e32 v53, v75, v78
	v_add_f32_e32 v47, v6, v75
	v_fmac_f32_e32 v6, -0.5, v53
	v_add_f32_e32 v47, v47, v76
	v_mov_b32_e32 v53, v6
	v_mul_f32_e32 v60, v60, v35
	v_add_f32_e32 v47, v47, v56
	v_fmac_f32_e32 v53, 0x3f737871, v55
	v_sub_f32_e32 v57, v76, v75
	v_sub_f32_e32 v56, v56, v78
	v_fmac_f32_e32 v6, 0xbf737871, v55
	v_add_f32_e32 v55, v81, v83
	v_fmac_f32_e32 v60, v61, v34
	v_fmac_f32_e32 v53, 0xbf167918, v54
	v_add_f32_e32 v56, v57, v56
	v_fmac_f32_e32 v6, 0x3f167918, v54
	v_fma_f32 v64, -0.5, v55, v7
	v_fmac_f32_e32 v53, 0x3e9e377a, v56
	v_fmac_f32_e32 v6, 0x3e9e377a, v56
	v_sub_f32_e32 v55, v80, v60
	v_mov_b32_e32 v56, v64
	v_fmac_f32_e32 v56, 0x3f737871, v55
	v_sub_f32_e32 v57, v82, v84
	v_sub_f32_e32 v58, v79, v81
	;; [unrolled: 1-line block ×3, first 2 shown]
	v_fmac_f32_e32 v64, 0xbf737871, v55
	v_fmac_f32_e32 v56, 0x3f167918, v57
	v_add_f32_e32 v58, v58, v61
	v_fmac_f32_e32 v64, 0xbf167918, v57
	v_fmac_f32_e32 v56, 0x3e9e377a, v58
	;; [unrolled: 1-line block ×3, first 2 shown]
	v_add_f32_e32 v58, v79, v59
	v_add_f32_e32 v54, v7, v79
	v_fma_f32 v7, -0.5, v58, v7
	v_mov_b32_e32 v58, v7
	v_fmac_f32_e32 v58, 0xbf737871, v57
	v_sub_f32_e32 v61, v81, v79
	v_sub_f32_e32 v65, v83, v59
	v_fmac_f32_e32 v7, 0x3f737871, v57
	v_add_f32_e32 v57, v82, v84
	v_add_f32_e32 v54, v54, v81
	v_fmac_f32_e32 v58, 0x3f167918, v55
	v_add_f32_e32 v61, v61, v65
	v_fmac_f32_e32 v7, 0xbf167918, v55
	v_fma_f32 v65, -0.5, v57, v8
	v_add_f32_e32 v54, v54, v83
	v_fmac_f32_e32 v58, 0x3e9e377a, v61
	v_fmac_f32_e32 v7, 0x3e9e377a, v61
	v_sub_f32_e32 v61, v79, v59
	v_mov_b32_e32 v57, v65
	v_add_f32_e32 v54, v54, v59
	v_fmac_f32_e32 v57, 0xbf737871, v61
	v_sub_f32_e32 v71, v81, v83
	v_sub_f32_e32 v59, v80, v82
	;; [unrolled: 1-line block ×3, first 2 shown]
	v_fmac_f32_e32 v65, 0x3f737871, v61
	v_fmac_f32_e32 v57, 0xbf167918, v71
	v_add_f32_e32 v59, v59, v72
	v_fmac_f32_e32 v65, 0x3f167918, v71
	v_add_f32_e32 v55, v8, v80
	v_fmac_f32_e32 v57, 0x3e9e377a, v59
	v_fmac_f32_e32 v65, 0x3e9e377a, v59
	v_add_f32_e32 v59, v80, v60
	v_add_f32_e32 v55, v55, v82
	v_fmac_f32_e32 v8, -0.5, v59
	v_add_f32_e32 v55, v55, v84
	v_mov_b32_e32 v59, v8
	ds_write2_b64 v173, v[9:10], v[42:43] offset1:24
	ds_write2_b64 v173, v[44:45], v[3:4] offset0:48 offset1:72
	ds_write_b64 v173, v[40:41] offset:768
	v_mul_u32_u24_e32 v3, 0x78, v63
	v_add_f32_e32 v55, v55, v60
	v_fmac_f32_e32 v59, 0x3f737871, v71
	v_sub_f32_e32 v72, v82, v80
	v_sub_f32_e32 v60, v84, v60
	v_fmac_f32_e32 v8, 0xbf737871, v71
	v_add_lshl_u32 v174, v3, v68, 3
	v_mul_u32_u24_e32 v3, 0x78, v69
	v_add_f32_e32 v47, v47, v78
	v_fmac_f32_e32 v59, 0xbf167918, v61
	v_add_f32_e32 v60, v72, v60
	v_fmac_f32_e32 v8, 0x3f167918, v61
	v_add_lshl_u32 v175, v3, v70, 3
	v_fmac_f32_e32 v59, 0x3e9e377a, v60
	v_fmac_f32_e32 v8, 0x3e9e377a, v60
	ds_write2_b64 v174, v[46:47], v[50:51] offset1:24
	ds_write2_b64 v174, v[52:53], v[5:6] offset0:48 offset1:72
	ds_write_b64 v174, v[48:49] offset:768
	ds_write2_b64 v175, v[54:55], v[56:57] offset1:24
	ds_write2_b64 v175, v[58:59], v[7:8] offset0:48 offset1:72
	ds_write_b64 v175, v[64:65] offset:768
	s_waitcnt lgkmcnt(0)
	; wave barrier
	s_waitcnt lgkmcnt(0)
	ds_read2_b64 v[68:71], v141 offset1:56
	ds_read2_b64 v[72:75], v141 offset0:120 offset1:176
	ds_read2_b64 v[76:79], v2 offset0:112 offset1:168
	;; [unrolled: 1-line block ×3, first 2 shown]
	v_add_u32_e32 v2, 0xc00, v141
	ds_read2_b64 v[84:87], v2 offset0:96 offset1:152
	ds_read2_b64 v[88:91], v0 offset0:88 offset1:144
	v_add_u32_e32 v2, 0x1400, v141
	ds_read2_b64 v[92:95], v2 offset0:80 offset1:136
	s_and_saveexec_b64 s[16:17], s[4:5]
	s_cbranch_execz .LBB0_17
; %bb.16:
	ds_read2_b64 v[64:67], v141 offset0:112 offset1:232
	ds_read2_b64 v[96:99], v1 offset0:96 offset1:216
	;; [unrolled: 1-line block ×3, first 2 shown]
	ds_read_b64 v[139:140], v141 offset:6656
.LBB0_17:
	s_or_b64 exec, exec, s[16:17]
	v_mad_u64_u32 v[0:1], s[16:17], v142, 48, s[14:15]
	v_add_u32_e32 v2, -8, v142
	v_mov_b32_e32 v3, s15
	global_load_dwordx4 v[48:51], v[0:1], off offset:944
	global_load_dwordx4 v[44:47], v[0:1], off offset:960
	;; [unrolled: 1-line block ×6, first 2 shown]
	v_cndmask_b32_e64 v0, v2, v176, s[4:5]
	v_mul_hi_i32_i24_e32 v1, 48, v0
	v_mul_i32_i24_e32 v0, 48, v0
	v_add_co_u32_e32 v4, vcc, s14, v0
	v_addc_co_u32_e32 v5, vcc, v3, v1, vcc
	global_load_dwordx4 v[0:3], v[4:5], off offset:944
	global_load_dwordx4 v[8:11], v[4:5], off offset:960
	s_nop 0
	global_load_dwordx4 v[4:7], v[4:5], off offset:976
	s_mov_b32 s12, 0x3f5ff5aa
	s_mov_b32 s14, 0x3f3bfb3b
	s_mov_b32 s15, 0xbf3bfb3b
	s_mov_b32 s16, 0xbeae86e6
	s_waitcnt vmcnt(8) lgkmcnt(5)
	v_mul_f32_e32 v176, v73, v49
	v_mul_f32_e32 v177, v72, v49
	s_waitcnt lgkmcnt(4)
	v_mul_f32_e32 v178, v77, v51
	s_waitcnt vmcnt(7) lgkmcnt(3)
	v_mul_f32_e32 v180, v81, v45
	v_mul_f32_e32 v181, v80, v45
	s_waitcnt vmcnt(6) lgkmcnt(1)
	v_mul_f32_e32 v184, v89, v41
	s_waitcnt lgkmcnt(0)
	v_mul_f32_e32 v186, v93, v43
	s_waitcnt vmcnt(5)
	v_mul_f32_e32 v188, v75, v53
	v_mul_f32_e32 v179, v76, v51
	;; [unrolled: 1-line block ×4, first 2 shown]
	s_waitcnt vmcnt(1)
	v_mul_f32_e32 v207, v100, v11
	s_waitcnt vmcnt(0)
	v_mul_f32_e32 v208, v103, v5
	v_mul_f32_e32 v187, v92, v43
	;; [unrolled: 1-line block ×5, first 2 shown]
	v_fma_f32 v72, v72, v48, -v176
	v_fmac_f32_e32 v177, v73, v48
	v_fma_f32 v73, v76, v50, -v178
	v_fma_f32 v76, v80, v44, -v180
	v_fmac_f32_e32 v181, v81, v44
	v_fma_f32 v80, v88, v40, -v184
	v_fma_f32 v81, v92, v42, -v186
	;; [unrolled: 1-line block ×3, first 2 shown]
	v_fmac_f32_e32 v207, v101, v10
	v_fma_f32 v101, v102, v4, -v208
	v_mul_f32_e32 v102, v102, v5
	v_mul_f32_e32 v74, v140, v7
	;; [unrolled: 1-line block ×5, first 2 shown]
	v_fmac_f32_e32 v179, v77, v50
	v_fma_f32 v77, v84, v46, -v182
	v_fmac_f32_e32 v185, v89, v40
	v_fmac_f32_e32 v187, v93, v42
	;; [unrolled: 1-line block ×4, first 2 shown]
	v_fma_f32 v103, v139, v6, -v74
	v_add_f32_e32 v74, v72, v81
	v_add_f32_e32 v79, v73, v80
	v_mul_f32_e32 v193, v82, v61
	v_mul_f32_e32 v195, v86, v63
	;; [unrolled: 1-line block ×5, first 2 shown]
	v_fmac_f32_e32 v183, v85, v46
	v_fmac_f32_e32 v189, v75, v52
	v_fma_f32 v92, v82, v60, -v192
	v_add_f32_e32 v75, v177, v187
	v_sub_f32_e32 v72, v72, v81
	v_add_f32_e32 v81, v179, v185
	v_sub_f32_e32 v73, v73, v80
	;; [unrolled: 2-line block ×3, first 2 shown]
	v_add_f32_e32 v84, v79, v74
	v_mul_f32_e32 v194, v87, v63
	v_mul_f32_e32 v199, v94, v59
	;; [unrolled: 1-line block ×6, first 2 shown]
	v_fmac_f32_e32 v193, v83, v60
	v_fmac_f32_e32 v195, v87, v62
	v_fma_f32 v87, v90, v56, -v196
	v_fmac_f32_e32 v197, v91, v56
	v_fma_f32 v90, v94, v58, -v198
	v_sub_f32_e32 v80, v179, v185
	v_add_f32_e32 v83, v181, v183
	v_sub_f32_e32 v77, v183, v181
	v_add_f32_e32 v85, v81, v75
	v_sub_f32_e32 v91, v79, v74
	v_sub_f32_e32 v74, v74, v82
	;; [unrolled: 1-line block ×3, first 2 shown]
	v_add_f32_e32 v94, v76, v73
	v_add_f32_e32 v82, v82, v84
	v_mul_f32_e32 v200, v67, v1
	v_mul_f32_e32 v205, v98, v9
	v_fma_f32 v89, v78, v54, -v190
	v_fmac_f32_e32 v201, v67, v0
	v_fma_f32 v67, v96, v2, -v202
	v_fmac_f32_e32 v203, v97, v2
	v_fma_f32 v176, v98, v8, -v204
	v_sub_f32_e32 v78, v177, v187
	v_sub_f32_e32 v93, v81, v75
	v_sub_f32_e32 v75, v75, v83
	v_sub_f32_e32 v81, v83, v81
	v_sub_f32_e32 v96, v76, v73
	v_sub_f32_e32 v97, v77, v80
	v_sub_f32_e32 v76, v72, v76
	v_sub_f32_e32 v98, v73, v72
	v_add_f32_e32 v83, v83, v85
	v_add_f32_e32 v84, v94, v72
	;; [unrolled: 1-line block ×3, first 2 shown]
	v_fmac_f32_e32 v199, v95, v58
	v_add_f32_e32 v95, v77, v80
	v_sub_f32_e32 v80, v80, v78
	v_add_f32_e32 v73, v69, v83
	v_mul_f32_e32 v94, 0xbf08b237, v97
	v_mov_b32_e32 v97, v72
	v_sub_f32_e32 v77, v78, v77
	v_add_f32_e32 v78, v95, v78
	v_mul_f32_e32 v68, 0x3f4a47b2, v74
	v_mul_f32_e32 v69, 0x3f4a47b2, v75
	;; [unrolled: 1-line block ×7, first 2 shown]
	v_fmac_f32_e32 v97, 0xbf955555, v82
	v_mov_b32_e32 v82, v73
	v_fmac_f32_e32 v82, 0xbf955555, v83
	v_fma_f32 v74, v91, s14, -v74
	v_fma_f32 v75, v93, s14, -v75
	;; [unrolled: 1-line block ×3, first 2 shown]
	v_fmac_f32_e32 v68, 0x3d64c772, v79
	v_fma_f32 v79, v93, s15, -v69
	v_fma_f32 v80, v80, s12, -v94
	v_fmac_f32_e32 v94, 0x3eae86e6, v77
	v_fma_f32 v91, v76, s16, -v95
	v_fma_f32 v93, v77, s16, -v96
	v_fmac_f32_e32 v69, 0x3d64c772, v81
	v_fma_f32 v81, v98, s12, -v85
	v_fmac_f32_e32 v85, 0x3eae86e6, v76
	v_add_f32_e32 v68, v68, v97
	v_add_f32_e32 v95, v74, v97
	;; [unrolled: 1-line block ×4, first 2 shown]
	v_fmac_f32_e32 v94, 0x3ee1c552, v78
	v_fmac_f32_e32 v91, 0x3ee1c552, v84
	;; [unrolled: 1-line block ×3, first 2 shown]
	v_fma_f32 v86, v86, v62, -v194
	v_add_f32_e32 v69, v69, v82
	v_add_f32_e32 v96, v75, v82
	v_fmac_f32_e32 v85, 0x3ee1c552, v84
	v_fmac_f32_e32 v81, 0x3ee1c552, v84
	v_add_f32_e32 v74, v94, v68
	v_add_f32_e32 v76, v93, v83
	v_sub_f32_e32 v77, v97, v91
	v_sub_f32_e32 v82, v83, v93
	v_add_f32_e32 v83, v91, v97
	v_sub_f32_e32 v84, v68, v94
	v_add_f32_e32 v68, v88, v90
	v_add_f32_e32 v91, v89, v87
	v_fmac_f32_e32 v80, 0x3ee1c552, v78
	v_sub_f32_e32 v75, v69, v85
	v_add_f32_e32 v79, v81, v96
	v_sub_f32_e32 v81, v96, v81
	v_add_f32_e32 v85, v85, v69
	v_add_f32_e32 v69, v189, v199
	;; [unrolled: 1-line block ×5, first 2 shown]
	v_mul_f32_e32 v139, v139, v7
	v_sub_f32_e32 v78, v95, v80
	v_add_f32_e32 v80, v80, v95
	v_sub_f32_e32 v88, v88, v90
	v_sub_f32_e32 v87, v89, v87
	v_add_f32_e32 v95, v193, v195
	v_sub_f32_e32 v86, v86, v92
	v_add_f32_e32 v97, v93, v69
	v_sub_f32_e32 v98, v91, v68
	v_sub_f32_e32 v68, v68, v94
	;; [unrolled: 1-line block ×3, first 2 shown]
	v_add_f32_e32 v94, v94, v96
	v_fmac_f32_e32 v205, v99, v8
	v_fmac_f32_e32 v139, v140, v6
	v_sub_f32_e32 v89, v191, v197
	v_sub_f32_e32 v92, v195, v193
	;; [unrolled: 1-line block ×5, first 2 shown]
	v_add_f32_e32 v140, v86, v87
	v_sub_f32_e32 v178, v86, v87
	v_sub_f32_e32 v180, v88, v86
	v_add_f32_e32 v95, v95, v97
	v_add_f32_e32 v86, v70, v94
	v_sub_f32_e32 v90, v189, v199
	v_add_f32_e32 v177, v92, v89
	v_sub_f32_e32 v179, v92, v89
	v_sub_f32_e32 v181, v87, v88
	v_add_f32_e32 v88, v140, v88
	v_add_f32_e32 v87, v71, v95
	v_mul_f32_e32 v140, 0xbf08b237, v178
	v_mov_b32_e32 v178, v86
	v_sub_f32_e32 v92, v90, v92
	v_sub_f32_e32 v89, v89, v90
	v_add_f32_e32 v90, v177, v90
	v_mul_f32_e32 v68, 0x3f4a47b2, v68
	v_mul_f32_e32 v69, 0x3f4a47b2, v69
	;; [unrolled: 1-line block ×5, first 2 shown]
	v_fmac_f32_e32 v178, 0xbf955555, v94
	v_mov_b32_e32 v94, v87
	v_mul_f32_e32 v96, 0x3f5ff5aa, v181
	v_fmac_f32_e32 v94, 0xbf955555, v95
	v_fma_f32 v70, v98, s14, -v70
	v_fma_f32 v71, v99, s14, -v71
	;; [unrolled: 1-line block ×3, first 2 shown]
	v_fmac_f32_e32 v68, 0x3d64c772, v91
	v_fma_f32 v91, v99, s15, -v69
	v_fma_f32 v98, v181, s12, -v140
	;; [unrolled: 1-line block ×3, first 2 shown]
	v_fmac_f32_e32 v177, 0x3eae86e6, v92
	v_fma_f32 v66, v66, v0, -v200
	v_mul_f32_e32 v97, 0x3f5ff5aa, v89
	v_fmac_f32_e32 v69, 0x3d64c772, v93
	v_fmac_f32_e32 v140, 0x3eae86e6, v180
	v_fma_f32 v179, v180, s16, -v96
	v_add_f32_e32 v68, v68, v178
	v_add_f32_e32 v71, v71, v94
	v_fmac_f32_e32 v177, 0x3ee1c552, v90
	v_fmac_f32_e32 v98, 0x3ee1c552, v88
	v_fma_f32 v100, v100, v10, -v206
	v_fma_f32 v96, v92, s16, -v97
	v_add_f32_e32 v69, v69, v94
	v_add_f32_e32 v70, v70, v178
	;; [unrolled: 1-line block ×3, first 2 shown]
	v_fmac_f32_e32 v140, 0x3ee1c552, v88
	v_fmac_f32_e32 v99, 0x3ee1c552, v90
	;; [unrolled: 1-line block ×3, first 2 shown]
	v_add_f32_e32 v88, v177, v68
	v_add_f32_e32 v93, v98, v71
	v_sub_f32_e32 v95, v71, v98
	v_sub_f32_e32 v98, v68, v177
	v_add_f32_e32 v68, v66, v103
	v_add_f32_e32 v71, v67, v101
	;; [unrolled: 1-line block ×3, first 2 shown]
	v_fmac_f32_e32 v96, 0x3ee1c552, v90
	v_sub_f32_e32 v89, v69, v140
	v_sub_f32_e32 v92, v70, v99
	v_add_f32_e32 v94, v99, v70
	v_add_f32_e32 v99, v140, v69
	;; [unrolled: 1-line block ×3, first 2 shown]
	v_sub_f32_e32 v66, v66, v103
	v_add_f32_e32 v103, v203, v102
	v_sub_f32_e32 v67, v67, v101
	v_sub_f32_e32 v101, v203, v102
	v_add_f32_e32 v102, v176, v100
	v_sub_f32_e32 v100, v100, v176
	v_add_f32_e32 v176, v71, v68
	v_add_f32_e32 v90, v96, v97
	v_sub_f32_e32 v91, v178, v179
	v_sub_f32_e32 v96, v97, v96
	v_add_f32_e32 v97, v179, v178
	v_sub_f32_e32 v70, v201, v139
	v_add_f32_e32 v139, v205, v207
	v_add_f32_e32 v177, v103, v69
	v_sub_f32_e32 v178, v71, v68
	v_sub_f32_e32 v68, v68, v102
	;; [unrolled: 1-line block ×3, first 2 shown]
	v_add_f32_e32 v102, v102, v176
	v_sub_f32_e32 v140, v207, v205
	v_sub_f32_e32 v179, v103, v69
	;; [unrolled: 1-line block ×4, first 2 shown]
	v_add_f32_e32 v180, v100, v67
	v_sub_f32_e32 v182, v100, v67
	v_sub_f32_e32 v184, v66, v100
	v_add_f32_e32 v139, v139, v177
	v_add_f32_e32 v100, v64, v102
	;; [unrolled: 1-line block ×3, first 2 shown]
	v_sub_f32_e32 v183, v140, v101
	v_sub_f32_e32 v67, v67, v66
	;; [unrolled: 1-line block ×3, first 2 shown]
	v_add_f32_e32 v101, v65, v139
	v_mul_f32_e32 v176, 0xbf08b237, v182
	v_mov_b32_e32 v182, v100
	v_sub_f32_e32 v140, v70, v140
	v_add_f32_e32 v66, v180, v66
	v_add_f32_e32 v70, v181, v70
	v_mul_f32_e32 v64, 0x3f4a47b2, v68
	v_mul_f32_e32 v65, 0x3f4a47b2, v69
	;; [unrolled: 1-line block ×7, first 2 shown]
	v_fmac_f32_e32 v182, 0xbf955555, v102
	v_mov_b32_e32 v102, v101
	v_fmac_f32_e32 v102, 0xbf955555, v139
	v_fma_f32 v68, v178, s14, -v68
	v_fma_f32 v69, v179, s14, -v69
	;; [unrolled: 1-line block ×3, first 2 shown]
	v_fmac_f32_e32 v64, 0x3d64c772, v71
	v_fma_f32 v71, v179, s15, -v65
	v_fmac_f32_e32 v65, 0x3d64c772, v103
	v_fma_f32 v178, v67, s12, -v176
	v_fmac_f32_e32 v176, 0x3eae86e6, v184
	v_fma_f32 v179, v185, s12, -v177
	v_fmac_f32_e32 v177, 0x3eae86e6, v140
	v_fma_f32 v180, v184, s16, -v180
	v_fma_f32 v140, v140, s16, -v181
	v_add_f32_e32 v181, v64, v182
	v_add_f32_e32 v183, v65, v102
	;; [unrolled: 1-line block ×6, first 2 shown]
	v_fmac_f32_e32 v176, 0x3ee1c552, v66
	v_fmac_f32_e32 v177, 0x3ee1c552, v70
	;; [unrolled: 1-line block ×6, first 2 shown]
	v_add_f32_e32 v102, v177, v181
	v_sub_f32_e32 v103, v183, v176
	v_add_f32_e32 v64, v140, v139
	v_sub_f32_e32 v65, v71, v180
	v_sub_f32_e32 v66, v68, v179
	v_add_f32_e32 v67, v178, v69
	v_add_f32_e32 v68, v179, v68
	v_sub_f32_e32 v69, v69, v178
	v_sub_f32_e32 v70, v139, v140
	v_add_f32_e32 v71, v180, v71
	v_sub_f32_e32 v139, v181, v177
	v_add_f32_e32 v140, v176, v183
	ds_write_b64 v141, v[74:75] offset:960
	ds_write_b64 v141, v[76:77] offset:1920
	;; [unrolled: 1-line block ×6, first 2 shown]
	ds_write2_b64 v141, v[72:73], v[86:87] offset1:56
	ds_write_b64 v141, v[88:89] offset:1408
	ds_write_b64 v141, v[90:91] offset:2368
	;; [unrolled: 1-line block ×6, first 2 shown]
	s_and_saveexec_b64 s[14:15], s[4:5]
	s_cbranch_execz .LBB0_19
; %bb.18:
	v_add_u32_e32 v72, 0x800, v141
	ds_write2_b64 v141, v[100:101], v[102:103] offset0:112 offset1:232
	ds_write2_b64 v72, v[64:65], v[66:67] offset0:96 offset1:216
	v_add_u32_e32 v72, 0x1000, v141
	ds_write2_b64 v72, v[68:69], v[70:71] offset0:80 offset1:200
	ds_write_b64 v141, v[139:140] offset:6656
.LBB0_19:
	s_or_b64 exec, exec, s[14:15]
	v_mov_b32_e32 v72, s13
	v_addc_co_u32_e64 v76, vcc, 0, v72, s[2:3]
	v_add_co_u32_e32 v72, vcc, 0x1a40, v104
	s_mov_b64 s[2:3], vcc
	v_add_co_u32_e32 v73, vcc, 0x1000, v104
	v_addc_co_u32_e32 v74, vcc, 0, v76, vcc
	s_waitcnt lgkmcnt(0)
	; wave barrier
	s_waitcnt lgkmcnt(0)
	global_load_dwordx2 v[82:83], v[73:74], off offset:2624
	v_addc_co_u32_e64 v73, vcc, 0, v76, s[2:3]
	global_load_dwordx2 v[85:86], v[72:73], off offset:448
	global_load_dwordx2 v[97:98], v[72:73], off offset:3360
	;; [unrolled: 1-line block ×4, first 2 shown]
	s_movk_i32 s2, 0x2000
	v_add_co_u32_e32 v74, vcc, s2, v104
	v_addc_co_u32_e32 v75, vcc, 0, v76, vcc
	global_load_dwordx2 v[184:185], v[74:75], off offset:2784
	global_load_dwordx2 v[186:187], v[72:73], off offset:1344
	;; [unrolled: 1-line block ×5, first 2 shown]
	s_movk_i32 s2, 0x3000
	global_load_dwordx2 v[194:195], v[72:73], off offset:2240
	v_add_co_u32_e32 v74, vcc, s2, v104
	v_addc_co_u32_e32 v75, vcc, 0, v76, vcc
	global_load_dwordx2 v[196:197], v[74:75], off offset:32
	global_load_dwordx2 v[198:199], v[72:73], off offset:2688
	;; [unrolled: 1-line block ×3, first 2 shown]
	ds_read2_b64 v[78:81], v141 offset1:56
	v_add_u32_e32 v74, 0x800, v141
	v_add_u32_e32 v77, 0xc00, v141
	v_add_u32_e32 v84, 0x1000, v141
	v_add_u32_e32 v76, 0x400, v141
	s_waitcnt vmcnt(12) lgkmcnt(0)
	v_mul_f32_e32 v88, v81, v86
	v_mul_f32_e32 v75, v79, v83
	;; [unrolled: 1-line block ×4, first 2 shown]
	v_fma_f32 v86, v78, v82, -v75
	v_fmac_f32_e32 v87, v79, v82
	ds_write_b64 v141, v[86:87]
	v_fma_f32 v82, v80, v85, -v88
	v_fmac_f32_e32 v83, v81, v85
	ds_read2_b64 v[78:81], v74 offset0:80 offset1:164
	ds_read2_b64 v[85:88], v77 offset0:92 offset1:148
	;; [unrolled: 1-line block ×5, first 2 shown]
	s_waitcnt vmcnt(11) lgkmcnt(4)
	v_mul_f32_e32 v75, v81, v98
	v_mul_f32_e32 v99, v80, v98
	s_waitcnt vmcnt(10) lgkmcnt(3)
	v_mul_f32_e32 v202, v86, v181
	v_mul_f32_e32 v203, v85, v181
	;; [unrolled: 3-line block ×3, first 2 shown]
	s_waitcnt vmcnt(8)
	v_mul_f32_e32 v205, v88, v185
	v_mul_f32_e32 v183, v87, v185
	s_waitcnt vmcnt(7)
	v_mul_f32_e32 v206, v92, v187
	v_mul_f32_e32 v185, v91, v187
	s_waitcnt vmcnt(6) lgkmcnt(1)
	v_mul_f32_e32 v207, v94, v189
	v_mul_f32_e32 v187, v93, v189
	s_waitcnt vmcnt(5) lgkmcnt(0)
	v_mul_f32_e32 v208, v177, v191
	v_mul_f32_e32 v189, v176, v191
	v_fma_f32 v98, v80, v97, -v75
	v_fmac_f32_e32 v99, v81, v97
	v_fma_f32 v202, v85, v180, -v202
	v_fmac_f32_e32 v203, v86, v180
	v_fma_f32 v180, v89, v182, -v204
	v_fmac_f32_e32 v181, v90, v182
	v_fma_f32 v182, v87, v184, -v205
	v_fmac_f32_e32 v183, v88, v184
	v_fma_f32 v184, v91, v186, -v206
	v_fmac_f32_e32 v185, v92, v186
	v_fma_f32 v186, v93, v188, -v207
	v_fmac_f32_e32 v187, v94, v188
	v_fma_f32 v188, v176, v190, -v208
	v_fmac_f32_e32 v189, v177, v190
	ds_write2_b64 v74, v[98:99], v[202:203] offset0:164 offset1:220
	ds_write2_b64 v141, v[82:83], v[180:181] offset0:56 offset1:112
	;; [unrolled: 1-line block ×4, first 2 shown]
	ds_read2_b64 v[80:83], v84 offset0:188 offset1:244
	s_waitcnt vmcnt(3)
	v_mul_f32_e32 v75, v179, v195
	v_fma_f32 v85, v178, v194, -v75
	v_mul_f32_e32 v209, v96, v193
	v_mul_f32_e32 v191, v95, v193
	s_waitcnt vmcnt(2) lgkmcnt(0)
	v_mul_f32_e32 v75, v81, v197
	v_mul_f32_e32 v88, v80, v197
	v_fma_f32 v87, v80, v196, -v75
	v_fmac_f32_e32 v88, v81, v196
	s_waitcnt vmcnt(1)
	v_mul_f32_e32 v75, v79, v199
	v_mul_f32_e32 v81, v78, v199
	;; [unrolled: 1-line block ×3, first 2 shown]
	v_fma_f32 v80, v78, v198, -v75
	v_fmac_f32_e32 v81, v79, v198
	s_waitcnt vmcnt(0)
	v_mul_f32_e32 v75, v83, v201
	v_mul_f32_e32 v79, v82, v201
	v_fma_f32 v190, v95, v192, -v209
	v_fmac_f32_e32 v191, v96, v192
	v_fmac_f32_e32 v86, v179, v194
	v_fma_f32 v78, v82, v200, -v75
	v_fmac_f32_e32 v79, v83, v200
	ds_write2_b64 v84, v[190:191], v[87:88] offset0:132 offset1:188
	ds_write2_b64 v74, v[85:86], v[80:81] offset0:24 offset1:80
	ds_write_b64 v141, v[78:79] offset:6048
	s_and_saveexec_b64 s[2:3], s[0:1]
	s_cbranch_execz .LBB0_21
; %bb.20:
	global_load_dwordx2 v[78:79], v[72:73], off offset:3136
	v_add_co_u32_e32 v72, vcc, 0x1000, v72
	v_addc_co_u32_e32 v73, vcc, 0, v73, vcc
	global_load_dwordx2 v[72:73], v[72:73], off offset:2400
	ds_read_b64 v[80:81], v141 offset:3136
	ds_read_b64 v[82:83], v141 offset:6496
	s_waitcnt vmcnt(1) lgkmcnt(1)
	v_mul_f32_e32 v75, v81, v79
	v_mul_f32_e32 v86, v80, v79
	v_fma_f32 v85, v80, v78, -v75
	v_fmac_f32_e32 v86, v81, v78
	ds_write_b64 v141, v[85:86] offset:3136
	s_waitcnt vmcnt(0) lgkmcnt(1)
	v_mul_f32_e32 v75, v83, v73
	v_mul_f32_e32 v79, v82, v73
	v_fma_f32 v78, v82, v72, -v75
	v_fmac_f32_e32 v79, v83, v72
	ds_write_b64 v141, v[78:79] offset:6496
.LBB0_21:
	s_or_b64 exec, exec, s[2:3]
	s_waitcnt lgkmcnt(0)
	; wave barrier
	s_waitcnt lgkmcnt(0)
	ds_read2_b64 v[80:83], v141 offset1:56
	ds_read2_b64 v[72:75], v74 offset0:80 offset1:164
	ds_read2_b64 v[96:99], v77 offset0:92 offset1:148
	;; [unrolled: 1-line block ×6, first 2 shown]
	v_lshlrev_b32_e32 v176, 3, v157
	v_lshlrev_b32_e32 v157, 3, v158
	s_and_saveexec_b64 s[2:3], s[0:1]
	s_cbranch_execz .LBB0_23
; %bb.22:
	ds_read_b64 v[100:101], v141 offset:3136
	ds_read_b64 v[102:103], v141 offset:6496
.LBB0_23:
	s_or_b64 exec, exec, s[2:3]
	s_waitcnt lgkmcnt(0)
	v_sub_f32_e32 v187, v78, v84
	v_sub_f32_e32 v188, v79, v85
	;; [unrolled: 1-line block ×8, first 2 shown]
	v_fma_f32 v185, v78, 2.0, -v187
	v_fma_f32 v186, v79, 2.0, -v188
	v_sub_f32_e32 v78, v72, v86
	v_sub_f32_e32 v79, v73, v87
	;; [unrolled: 1-line block ×4, first 2 shown]
	v_fma_f32 v177, v80, 2.0, -v179
	v_fma_f32 v178, v81, 2.0, -v180
	;; [unrolled: 1-line block ×4, first 2 shown]
	v_sub_f32_e32 v82, v88, v98
	v_sub_f32_e32 v83, v89, v99
	;; [unrolled: 1-line block ×4, first 2 shown]
	v_fma_f32 v94, v76, 2.0, -v96
	v_fma_f32 v95, v77, 2.0, -v97
	;; [unrolled: 1-line block ×10, first 2 shown]
	s_waitcnt lgkmcnt(0)
	; wave barrier
	ds_write_b128 v145, v[177:180]
	ds_write_b128 v146, v[181:184]
	ds_write_b128 v148, v[80:83]
	ds_write_b128 v149, v[90:93]
	ds_write_b128 v151, v[94:97]
	ds_write_b128 v176, v[185:188]
	ds_write_b128 v157, v[76:79]
	s_and_saveexec_b64 s[2:3], s[0:1]
	s_cbranch_execz .LBB0_25
; %bb.24:
	ds_write_b128 v150, v[72:75]
.LBB0_25:
	s_or_b64 exec, exec, s[2:3]
	v_add_u32_e32 v76, 0x800, v141
	v_add_u32_e32 v84, 0xc00, v141
	;; [unrolled: 1-line block ×4, first 2 shown]
	s_waitcnt lgkmcnt(0)
	; wave barrier
	s_waitcnt lgkmcnt(0)
	ds_read2_b64 v[80:83], v141 offset1:56
	ds_read2_b64 v[76:79], v76 offset0:80 offset1:164
	ds_read2_b64 v[100:103], v84 offset0:92 offset1:148
	ds_read2_b64 v[84:87], v141 offset0:112 offset1:168
	ds_read2_b64 v[96:99], v92 offset0:76 offset1:132
	ds_read2_b64 v[88:91], v88 offset0:96 offset1:152
	ds_read2_b64 v[92:95], v92 offset0:188 offset1:244
	s_and_saveexec_b64 s[2:3], s[0:1]
	s_cbranch_execz .LBB0_27
; %bb.26:
	ds_read_b64 v[72:73], v141 offset:3136
	ds_read_b64 v[74:75], v141 offset:6496
.LBB0_27:
	s_or_b64 exec, exec, s[2:3]
	s_waitcnt lgkmcnt(5)
	v_mul_f32_e32 v145, v136, v79
	v_fmac_f32_e32 v145, v135, v78
	v_mul_f32_e32 v78, v136, v78
	v_fma_f32 v78, v135, v79, -v78
	s_waitcnt lgkmcnt(4)
	v_mul_f32_e32 v146, v136, v101
	v_mul_f32_e32 v79, v136, v100
	v_fmac_f32_e32 v146, v135, v100
	v_fma_f32 v100, v135, v101, -v79
	v_mul_f32_e32 v101, v136, v103
	v_mul_f32_e32 v79, v136, v102
	v_fmac_f32_e32 v101, v135, v102
	v_fma_f32 v102, v135, v103, -v79
	s_waitcnt lgkmcnt(2)
	v_mul_f32_e32 v103, v136, v97
	v_mul_f32_e32 v79, v136, v96
	v_fmac_f32_e32 v103, v135, v96
	v_fma_f32 v96, v135, v97, -v79
	v_mul_f32_e32 v97, v136, v99
	v_mul_f32_e32 v79, v136, v98
	s_waitcnt lgkmcnt(0)
	v_mul_f32_e32 v151, v136, v75
	v_fmac_f32_e32 v97, v135, v98
	v_fma_f32 v98, v135, v99, -v79
	v_mul_f32_e32 v79, v136, v92
	v_fmac_f32_e32 v151, v135, v74
	v_mul_f32_e32 v74, v136, v74
	v_mul_f32_e32 v99, v136, v93
	v_fma_f32 v148, v135, v93, -v79
	v_mul_f32_e32 v149, v136, v95
	v_mul_f32_e32 v79, v136, v94
	v_fma_f32 v157, v135, v75, -v74
	v_fmac_f32_e32 v99, v135, v92
	v_fmac_f32_e32 v149, v135, v94
	v_fma_f32 v150, v135, v95, -v79
	v_sub_f32_e32 v74, v80, v145
	v_sub_f32_e32 v75, v81, v78
	;; [unrolled: 1-line block ×6, first 2 shown]
	v_fma_f32 v78, v80, 2.0, -v74
	v_fma_f32 v79, v81, 2.0, -v75
	v_sub_f32_e32 v80, v82, v146
	v_sub_f32_e32 v81, v83, v100
	;; [unrolled: 1-line block ×10, first 2 shown]
	v_fma_f32 v100, v72, 2.0, -v102
	v_fma_f32 v101, v73, 2.0, -v103
	v_fma_f32 v82, v82, 2.0, -v80
	v_fma_f32 v83, v83, 2.0, -v81
	v_fma_f32 v84, v84, 2.0, -v92
	v_fma_f32 v85, v85, 2.0, -v93
	v_fma_f32 v86, v86, 2.0, -v94
	v_fma_f32 v87, v87, 2.0, -v95
	v_fma_f32 v88, v88, 2.0, -v96
	v_fma_f32 v89, v89, 2.0, -v97
	v_fma_f32 v90, v90, 2.0, -v98
	v_fma_f32 v91, v91, 2.0, -v99
	v_fma_f32 v76, v76, 2.0, -v135
	v_fma_f32 v77, v77, 2.0, -v136
	s_waitcnt lgkmcnt(0)
	; wave barrier
	ds_write2_b64 v156, v[78:79], v[74:75] offset1:2
	ds_write2_b64 v155, v[82:83], v[80:81] offset1:2
	;; [unrolled: 1-line block ×7, first 2 shown]
	s_and_saveexec_b64 s[2:3], s[0:1]
	s_cbranch_execz .LBB0_29
; %bb.28:
	s_movk_i32 s12, 0x37c
	v_and_or_b32 v72, v144, s12, v143
	v_lshlrev_b32_e32 v72, 3, v72
	ds_write2_b64 v72, v[100:101], v[102:103] offset1:2
.LBB0_29:
	s_or_b64 exec, exec, s[2:3]
	v_add_u32_e32 v72, 0x800, v141
	v_add_u32_e32 v80, 0xc00, v141
	;; [unrolled: 1-line block ×4, first 2 shown]
	s_waitcnt lgkmcnt(0)
	; wave barrier
	s_waitcnt lgkmcnt(0)
	ds_read2_b64 v[76:79], v141 offset1:56
	ds_read2_b64 v[72:75], v72 offset0:80 offset1:164
	ds_read2_b64 v[96:99], v80 offset0:92 offset1:148
	;; [unrolled: 1-line block ×6, first 2 shown]
	s_and_saveexec_b64 s[2:3], s[0:1]
	s_cbranch_execz .LBB0_31
; %bb.30:
	ds_read_b64 v[100:101], v141 offset:3136
	ds_read_b64 v[102:103], v141 offset:6496
.LBB0_31:
	s_or_b64 exec, exec, s[2:3]
	s_waitcnt lgkmcnt(5)
	v_mul_f32_e32 v135, v138, v75
	v_fmac_f32_e32 v135, v137, v74
	v_mul_f32_e32 v74, v138, v74
	v_fma_f32 v74, v137, v75, -v74
	s_waitcnt lgkmcnt(4)
	v_mul_f32_e32 v75, v138, v97
	v_fmac_f32_e32 v75, v137, v96
	v_mul_f32_e32 v96, v138, v96
	v_fma_f32 v96, v137, v97, -v96
	v_mul_f32_e32 v97, v138, v99
	v_fmac_f32_e32 v97, v137, v98
	v_mul_f32_e32 v98, v138, v98
	s_waitcnt lgkmcnt(0)
	v_mul_f32_e32 v146, v138, v89
	v_fma_f32 v98, v137, v99, -v98
	v_mul_f32_e32 v99, v138, v93
	v_fmac_f32_e32 v146, v137, v88
	v_mul_f32_e32 v88, v138, v88
	v_fmac_f32_e32 v99, v137, v92
	v_mul_f32_e32 v92, v138, v92
	v_fma_f32 v148, v137, v89, -v88
	v_mul_f32_e32 v88, v138, v90
	v_fma_f32 v136, v137, v93, -v92
	v_mul_f32_e32 v143, v138, v95
	v_mul_f32_e32 v92, v138, v94
	;; [unrolled: 1-line block ×3, first 2 shown]
	v_fma_f32 v150, v137, v91, -v88
	v_mul_f32_e32 v151, v138, v103
	v_mul_f32_e32 v88, v138, v102
	v_fmac_f32_e32 v143, v137, v94
	v_fma_f32 v145, v137, v95, -v92
	v_fmac_f32_e32 v149, v137, v90
	v_fmac_f32_e32 v151, v137, v102
	v_fma_f32 v137, v137, v103, -v88
	v_sub_f32_e32 v88, v76, v135
	v_sub_f32_e32 v89, v77, v74
	v_fma_f32 v76, v76, 2.0, -v88
	v_fma_f32 v77, v77, 2.0, -v89
	v_sub_f32_e32 v90, v78, v75
	v_sub_f32_e32 v91, v79, v96
	;; [unrolled: 1-line block ×14, first 2 shown]
	v_fma_f32 v78, v78, 2.0, -v90
	v_fma_f32 v79, v79, 2.0, -v91
	v_fma_f32 v80, v80, 2.0, -v92
	v_fma_f32 v81, v81, 2.0, -v93
	v_fma_f32 v82, v82, 2.0, -v94
	v_fma_f32 v83, v83, 2.0, -v95
	v_fma_f32 v84, v84, 2.0, -v96
	v_fma_f32 v85, v85, 2.0, -v97
	v_fma_f32 v86, v86, 2.0, -v98
	v_fma_f32 v87, v87, 2.0, -v99
	v_fma_f32 v72, v72, 2.0, -v102
	v_fma_f32 v73, v73, 2.0, -v103
	s_waitcnt lgkmcnt(0)
	; wave barrier
	ds_write2_b64 v165, v[76:77], v[88:89] offset1:4
	ds_write2_b64 v164, v[78:79], v[90:91] offset1:4
	;; [unrolled: 1-line block ×7, first 2 shown]
	s_and_saveexec_b64 s[2:3], s[0:1]
	s_cbranch_execz .LBB0_33
; %bb.32:
	s_movk_i32 s12, 0x378
	v_and_or_b32 v76, v144, s12, v147
	v_fma_f32 v73, v101, 2.0, -v75
	v_fma_f32 v72, v100, 2.0, -v74
	v_lshlrev_b32_e32 v76, 3, v76
	ds_write2_b64 v76, v[72:73], v[74:75] offset1:4
.LBB0_33:
	s_or_b64 exec, exec, s[2:3]
	v_add_u32_e32 v78, 0x400, v141
	s_waitcnt lgkmcnt(0)
	; wave barrier
	s_waitcnt lgkmcnt(0)
	ds_read2_b64 v[83:86], v78 offset0:96 offset1:152
	v_add_u32_e32 v76, 0x1000, v141
	ds_read2_b64 v[87:90], v76 offset0:48 offset1:104
	v_add_u32_e32 v77, 0x800, v141
	ds_read2_b64 v[79:82], v141 offset1:56
	s_waitcnt lgkmcnt(2)
	v_mul_f32_e32 v103, v13, v86
	v_fmac_f32_e32 v103, v12, v85
	v_mul_f32_e32 v85, v13, v85
	v_fma_f32 v85, v12, v86, -v85
	s_waitcnt lgkmcnt(1)
	v_mul_f32_e32 v86, v15, v88
	ds_read2_b64 v[91:94], v77 offset0:80 offset1:136
	ds_read2_b64 v[95:98], v141 offset0:112 offset1:168
	;; [unrolled: 1-line block ×4, first 2 shown]
	ds_read_b64 v[72:73], v141 offset:6272
	v_fmac_f32_e32 v86, v14, v87
	v_mul_f32_e32 v87, v15, v87
	v_fma_f32 v87, v14, v88, -v87
	s_waitcnt lgkmcnt(4)
	v_mul_f32_e32 v88, v13, v92
	v_fmac_f32_e32 v88, v12, v91
	v_mul_f32_e32 v91, v13, v91
	v_fma_f32 v91, v12, v92, -v91
	v_mul_f32_e32 v92, v15, v90
	v_fmac_f32_e32 v92, v14, v89
	v_mul_f32_e32 v89, v15, v89
	v_mul_f32_e32 v143, v13, v94
	v_fma_f32 v89, v14, v90, -v89
	v_fmac_f32_e32 v143, v12, v93
	v_mul_f32_e32 v90, v13, v93
	s_waitcnt lgkmcnt(2)
	v_mul_f32_e32 v93, v15, v100
	v_fma_f32 v90, v12, v94, -v90
	v_fmac_f32_e32 v93, v14, v99
	v_mul_f32_e32 v94, v15, v99
	s_waitcnt lgkmcnt(1)
	v_mul_f32_e32 v99, v13, v136
	v_fma_f32 v94, v14, v100, -v94
	v_fmac_f32_e32 v99, v12, v135
	v_mul_f32_e32 v100, v13, v135
	v_mul_f32_e32 v135, v15, v102
	v_fmac_f32_e32 v135, v14, v101
	v_mul_f32_e32 v101, v15, v101
	v_fma_f32 v101, v14, v102, -v101
	v_mul_f32_e32 v102, v13, v138
	v_mul_f32_e32 v13, v13, v137
	v_fma_f32 v100, v12, v136, -v100
	v_fmac_f32_e32 v102, v12, v137
	v_fma_f32 v136, v12, v138, -v13
	s_waitcnt lgkmcnt(0)
	v_mul_f32_e32 v137, v15, v73
	v_mul_f32_e32 v12, v15, v72
	v_add_f32_e32 v13, v103, v86
	v_fmac_f32_e32 v137, v14, v72
	v_fma_f32 v138, v14, v73, -v12
	v_fma_f32 v14, -0.5, v13, v79
	v_add_f32_e32 v15, v85, v87
	v_sub_f32_e32 v13, v85, v87
	v_mov_b32_e32 v72, v14
	v_fma_f32 v15, -0.5, v15, v80
	v_add_f32_e32 v12, v79, v103
	v_fmac_f32_e32 v72, 0xbf5db3d7, v13
	v_fmac_f32_e32 v14, 0x3f5db3d7, v13
	v_add_f32_e32 v13, v80, v85
	v_sub_f32_e32 v79, v103, v86
	v_mov_b32_e32 v73, v15
	v_add_f32_e32 v80, v88, v92
	v_fmac_f32_e32 v73, 0x3f5db3d7, v79
	v_fmac_f32_e32 v15, 0xbf5db3d7, v79
	v_add_f32_e32 v79, v81, v88
	v_fma_f32 v81, -0.5, v80, v81
	v_sub_f32_e32 v80, v91, v89
	v_mov_b32_e32 v85, v81
	v_add_f32_e32 v13, v13, v87
	v_fmac_f32_e32 v85, 0xbf5db3d7, v80
	v_fmac_f32_e32 v81, 0x3f5db3d7, v80
	v_add_f32_e32 v80, v82, v91
	v_sub_f32_e32 v87, v88, v92
	v_add_f32_e32 v88, v143, v93
	v_add_f32_e32 v12, v12, v86
	;; [unrolled: 1-line block ×4, first 2 shown]
	v_fma_f32 v89, -0.5, v88, v95
	v_fmac_f32_e32 v82, -0.5, v86
	v_sub_f32_e32 v88, v90, v94
	v_mov_b32_e32 v91, v89
	v_mov_b32_e32 v86, v82
	v_fmac_f32_e32 v91, 0xbf5db3d7, v88
	v_fmac_f32_e32 v89, 0x3f5db3d7, v88
	v_add_f32_e32 v88, v96, v90
	v_add_f32_e32 v90, v90, v94
	v_fmac_f32_e32 v86, 0x3f5db3d7, v87
	v_fmac_f32_e32 v82, 0xbf5db3d7, v87
	v_add_f32_e32 v87, v95, v143
	v_fma_f32 v90, -0.5, v90, v96
	v_add_f32_e32 v79, v79, v92
	v_add_f32_e32 v87, v87, v93
	;; [unrolled: 1-line block ×3, first 2 shown]
	v_sub_f32_e32 v93, v143, v93
	v_mov_b32_e32 v92, v90
	v_add_f32_e32 v94, v99, v135
	v_fmac_f32_e32 v92, 0x3f5db3d7, v93
	v_fmac_f32_e32 v90, 0xbf5db3d7, v93
	v_add_f32_e32 v93, v97, v99
	v_fma_f32 v97, -0.5, v94, v97
	v_sub_f32_e32 v94, v100, v101
	v_mov_b32_e32 v95, v97
	v_add_f32_e32 v96, v100, v101
	v_fmac_f32_e32 v95, 0xbf5db3d7, v94
	v_fmac_f32_e32 v97, 0x3f5db3d7, v94
	v_add_f32_e32 v94, v98, v100
	v_fmac_f32_e32 v98, -0.5, v96
	v_sub_f32_e32 v99, v99, v135
	v_mov_b32_e32 v96, v98
	v_add_f32_e32 v100, v102, v137
	v_fmac_f32_e32 v96, 0x3f5db3d7, v99
	v_fmac_f32_e32 v98, 0xbf5db3d7, v99
	v_add_f32_e32 v99, v83, v102
	v_fma_f32 v83, -0.5, v100, v83
	v_add_f32_e32 v94, v94, v101
	v_sub_f32_e32 v100, v136, v138
	v_mov_b32_e32 v101, v83
	v_add_f32_e32 v103, v136, v138
	v_fmac_f32_e32 v101, 0xbf5db3d7, v100
	v_fmac_f32_e32 v83, 0x3f5db3d7, v100
	v_add_f32_e32 v100, v84, v136
	v_fmac_f32_e32 v84, -0.5, v103
	v_sub_f32_e32 v103, v102, v137
	v_mov_b32_e32 v102, v84
	v_add_f32_e32 v93, v93, v135
	v_add_f32_e32 v99, v99, v137
	;; [unrolled: 1-line block ×3, first 2 shown]
	v_fmac_f32_e32 v102, 0x3f5db3d7, v103
	v_fmac_f32_e32 v84, 0xbf5db3d7, v103
	s_waitcnt lgkmcnt(0)
	; wave barrier
	ds_write2_b64 v168, v[12:13], v[72:73] offset1:8
	ds_write_b64 v168, v[14:15] offset:128
	ds_write2_b64 v169, v[79:80], v[85:86] offset1:8
	ds_write_b64 v169, v[81:82] offset:128
	;; [unrolled: 2-line block ×5, first 2 shown]
	s_waitcnt lgkmcnt(0)
	; wave barrier
	s_waitcnt lgkmcnt(0)
	ds_read2_b64 v[12:15], v141 offset1:56
	ds_read2_b64 v[79:82], v141 offset0:112 offset1:168
	ds_read2_b64 v[83:86], v77 offset0:80 offset1:136
	;; [unrolled: 1-line block ×6, first 2 shown]
	ds_read_b64 v[72:73], v141 offset:6272
	s_waitcnt lgkmcnt(6)
	v_mul_f32_e32 v103, v21, v82
	v_mul_f32_e32 v21, v21, v81
	v_fmac_f32_e32 v103, v20, v81
	v_fma_f32 v81, v20, v82, -v21
	s_waitcnt lgkmcnt(5)
	v_mul_f32_e32 v82, v23, v84
	v_mul_f32_e32 v20, v23, v83
	s_waitcnt lgkmcnt(4)
	v_mul_f32_e32 v23, v17, v90
	v_mul_f32_e32 v17, v17, v89
	v_fmac_f32_e32 v82, v22, v83
	v_fma_f32 v83, v22, v84, -v20
	v_fmac_f32_e32 v23, v16, v89
	v_fma_f32 v84, v16, v90, -v17
	s_waitcnt lgkmcnt(3)
	v_mul_f32_e32 v16, v19, v91
	v_mul_f32_e32 v21, v19, v92
	v_fma_f32 v89, v18, v92, -v16
	s_waitcnt lgkmcnt(2)
	v_mul_f32_e32 v16, v29, v95
	v_fmac_f32_e32 v21, v18, v91
	v_fma_f32 v91, v28, v96, -v16
	v_mul_f32_e32 v92, v31, v86
	v_mul_f32_e32 v16, v31, v85
	v_fmac_f32_e32 v92, v30, v85
	v_fma_f32 v85, v30, v86, -v16
	s_waitcnt lgkmcnt(1)
	v_mul_f32_e32 v16, v25, v99
	v_add_f32_e32 v17, v82, v23
	v_mul_f32_e32 v90, v29, v96
	v_fma_f32 v86, v24, v100, -v16
	v_mul_f32_e32 v29, v27, v94
	v_mul_f32_e32 v16, v27, v93
	v_fma_f32 v18, -0.5, v17, v12
	v_mul_f32_e32 v31, v25, v100
	v_fmac_f32_e32 v29, v26, v93
	v_fma_f32 v93, v26, v94, -v16
	v_mul_f32_e32 v16, v37, v97
	v_sub_f32_e32 v17, v81, v89
	v_mov_b32_e32 v20, v18
	v_fmac_f32_e32 v90, v28, v95
	v_fmac_f32_e32 v31, v24, v99
	v_mul_f32_e32 v94, v37, v98
	v_fma_f32 v95, v36, v98, -v16
	v_mul_f32_e32 v37, v39, v88
	v_mul_f32_e32 v16, v39, v87
	v_fmac_f32_e32 v20, 0xbf737871, v17
	v_sub_f32_e32 v19, v83, v84
	v_sub_f32_e32 v22, v103, v82
	v_sub_f32_e32 v24, v21, v23
	v_fmac_f32_e32 v18, 0x3f737871, v17
	v_fmac_f32_e32 v37, v38, v87
	v_fma_f32 v38, v38, v88, -v16
	v_mul_f32_e32 v16, v33, v101
	v_fmac_f32_e32 v20, 0xbf167918, v19
	v_add_f32_e32 v22, v22, v24
	v_fmac_f32_e32 v18, 0x3f167918, v19
	v_fma_f32 v87, v32, v102, -v16
	s_waitcnt lgkmcnt(0)
	v_mul_f32_e32 v16, v35, v72
	v_fmac_f32_e32 v20, 0x3e9e377a, v22
	v_fmac_f32_e32 v18, 0x3e9e377a, v22
	v_add_f32_e32 v22, v103, v21
	v_fma_f32 v96, v34, v73, -v16
	v_add_f32_e32 v16, v12, v103
	v_fma_f32 v12, -0.5, v22, v12
	v_mov_b32_e32 v22, v12
	v_add_f32_e32 v16, v16, v82
	v_fmac_f32_e32 v22, 0x3f737871, v19
	v_sub_f32_e32 v24, v82, v103
	v_sub_f32_e32 v25, v23, v21
	v_fmac_f32_e32 v12, 0xbf737871, v19
	v_add_f32_e32 v19, v83, v84
	v_add_f32_e32 v16, v16, v23
	v_fmac_f32_e32 v22, 0xbf167918, v17
	v_add_f32_e32 v24, v24, v25
	v_fmac_f32_e32 v12, 0x3f167918, v17
	v_fma_f32 v19, -0.5, v19, v13
	v_add_f32_e32 v16, v16, v21
	v_fmac_f32_e32 v22, 0x3e9e377a, v24
	v_fmac_f32_e32 v12, 0x3e9e377a, v24
	v_sub_f32_e32 v24, v103, v21
	v_mov_b32_e32 v21, v19
	v_fmac_f32_e32 v21, 0x3f737871, v24
	v_sub_f32_e32 v25, v82, v23
	v_sub_f32_e32 v23, v81, v83
	;; [unrolled: 1-line block ×3, first 2 shown]
	v_fmac_f32_e32 v19, 0xbf737871, v24
	v_fmac_f32_e32 v21, 0x3f167918, v25
	v_add_f32_e32 v23, v23, v26
	v_fmac_f32_e32 v19, 0xbf167918, v25
	v_fmac_f32_e32 v21, 0x3e9e377a, v23
	;; [unrolled: 1-line block ×3, first 2 shown]
	v_add_f32_e32 v23, v81, v89
	v_add_f32_e32 v17, v13, v81
	v_fma_f32 v13, -0.5, v23, v13
	v_mov_b32_e32 v23, v13
	v_fmac_f32_e32 v23, 0xbf737871, v25
	v_sub_f32_e32 v26, v83, v81
	v_sub_f32_e32 v27, v84, v89
	v_fmac_f32_e32 v13, 0x3f737871, v25
	v_fmac_f32_e32 v23, 0x3f167918, v24
	v_add_f32_e32 v26, v26, v27
	v_fmac_f32_e32 v13, 0xbf167918, v24
	v_add_f32_e32 v25, v92, v31
	v_fmac_f32_e32 v23, 0x3e9e377a, v26
	v_fmac_f32_e32 v13, 0x3e9e377a, v26
	v_fma_f32 v26, -0.5, v25, v14
	v_mul_f32_e32 v39, v33, v102
	v_sub_f32_e32 v25, v91, v93
	v_mov_b32_e32 v28, v26
	v_fmac_f32_e32 v39, v32, v101
	v_fmac_f32_e32 v28, 0xbf737871, v25
	v_sub_f32_e32 v27, v85, v86
	v_sub_f32_e32 v30, v90, v92
	;; [unrolled: 1-line block ×3, first 2 shown]
	v_fmac_f32_e32 v26, 0x3f737871, v25
	v_fmac_f32_e32 v28, 0xbf167918, v27
	v_add_f32_e32 v30, v30, v32
	v_fmac_f32_e32 v26, 0x3f167918, v27
	v_fmac_f32_e32 v28, 0x3e9e377a, v30
	;; [unrolled: 1-line block ×3, first 2 shown]
	v_add_f32_e32 v30, v90, v29
	v_add_f32_e32 v24, v14, v90
	v_fma_f32 v14, -0.5, v30, v14
	v_mov_b32_e32 v30, v14
	v_add_f32_e32 v24, v24, v92
	v_fmac_f32_e32 v30, 0x3f737871, v27
	v_sub_f32_e32 v32, v92, v90
	v_sub_f32_e32 v33, v31, v29
	v_fmac_f32_e32 v14, 0xbf737871, v27
	v_add_f32_e32 v27, v85, v86
	v_add_f32_e32 v24, v24, v31
	v_fmac_f32_e32 v30, 0xbf167918, v25
	v_add_f32_e32 v32, v32, v33
	v_fmac_f32_e32 v14, 0x3f167918, v25
	v_fma_f32 v27, -0.5, v27, v15
	v_mul_f32_e32 v88, v35, v73
	v_add_f32_e32 v24, v24, v29
	v_fmac_f32_e32 v30, 0x3e9e377a, v32
	v_fmac_f32_e32 v14, 0x3e9e377a, v32
	v_sub_f32_e32 v32, v90, v29
	v_mov_b32_e32 v29, v27
	v_fmac_f32_e32 v88, v34, v72
	v_fmac_f32_e32 v29, 0x3f737871, v32
	v_sub_f32_e32 v33, v92, v31
	v_sub_f32_e32 v31, v91, v85
	;; [unrolled: 1-line block ×3, first 2 shown]
	v_fmac_f32_e32 v27, 0xbf737871, v32
	v_fmac_f32_e32 v29, 0x3f167918, v33
	v_add_f32_e32 v31, v31, v34
	v_fmac_f32_e32 v27, 0xbf167918, v33
	v_fmac_f32_e32 v29, 0x3e9e377a, v31
	;; [unrolled: 1-line block ×3, first 2 shown]
	v_add_f32_e32 v31, v91, v93
	v_add_f32_e32 v25, v15, v91
	v_fmac_f32_e32 v15, -0.5, v31
	v_mov_b32_e32 v31, v15
	v_fmac_f32_e32 v31, 0xbf737871, v33
	v_sub_f32_e32 v34, v85, v91
	v_sub_f32_e32 v35, v86, v93
	v_fmac_f32_e32 v15, 0x3f737871, v33
	v_add_f32_e32 v33, v37, v39
	v_fmac_f32_e32 v31, 0x3f167918, v32
	v_add_f32_e32 v34, v34, v35
	v_fmac_f32_e32 v15, 0xbf167918, v32
	v_fma_f32 v72, -0.5, v33, v79
	v_fmac_f32_e32 v94, v36, v97
	v_fmac_f32_e32 v31, 0x3e9e377a, v34
	;; [unrolled: 1-line block ×3, first 2 shown]
	v_sub_f32_e32 v33, v95, v96
	v_mov_b32_e32 v34, v72
	v_fmac_f32_e32 v34, 0xbf737871, v33
	v_sub_f32_e32 v35, v38, v87
	v_sub_f32_e32 v36, v94, v37
	;; [unrolled: 1-line block ×3, first 2 shown]
	v_fmac_f32_e32 v72, 0x3f737871, v33
	v_fmac_f32_e32 v34, 0xbf167918, v35
	v_add_f32_e32 v36, v36, v73
	v_fmac_f32_e32 v72, 0x3f167918, v35
	v_fmac_f32_e32 v34, 0x3e9e377a, v36
	;; [unrolled: 1-line block ×3, first 2 shown]
	v_add_f32_e32 v36, v94, v88
	v_add_f32_e32 v32, v79, v94
	v_fma_f32 v79, -0.5, v36, v79
	v_mov_b32_e32 v36, v79
	v_fmac_f32_e32 v36, 0x3f737871, v35
	v_sub_f32_e32 v73, v37, v94
	v_sub_f32_e32 v81, v39, v88
	v_fmac_f32_e32 v79, 0xbf737871, v35
	v_fmac_f32_e32 v36, 0xbf167918, v33
	v_add_f32_e32 v73, v73, v81
	v_fmac_f32_e32 v79, 0x3f167918, v33
	v_add_f32_e32 v35, v38, v87
	v_fmac_f32_e32 v36, 0x3e9e377a, v73
	v_fmac_f32_e32 v79, 0x3e9e377a, v73
	v_fma_f32 v73, -0.5, v35, v80
	v_add_f32_e32 v32, v32, v37
	v_sub_f32_e32 v81, v94, v88
	v_mov_b32_e32 v35, v73
	v_add_f32_e32 v32, v32, v39
	v_fmac_f32_e32 v35, 0x3f737871, v81
	v_sub_f32_e32 v39, v37, v39
	v_sub_f32_e32 v37, v95, v38
	;; [unrolled: 1-line block ×3, first 2 shown]
	v_fmac_f32_e32 v73, 0xbf737871, v81
	v_fmac_f32_e32 v35, 0x3f167918, v39
	v_add_f32_e32 v37, v37, v82
	v_fmac_f32_e32 v73, 0xbf167918, v39
	v_fmac_f32_e32 v35, 0x3e9e377a, v37
	;; [unrolled: 1-line block ×3, first 2 shown]
	v_add_f32_e32 v37, v95, v96
	v_add_f32_e32 v33, v80, v95
	v_fmac_f32_e32 v80, -0.5, v37
	v_mov_b32_e32 v37, v80
	v_add_f32_e32 v17, v17, v83
	v_add_f32_e32 v33, v33, v38
	v_fmac_f32_e32 v37, 0xbf737871, v39
	v_sub_f32_e32 v38, v38, v95
	v_sub_f32_e32 v82, v87, v96
	v_add_f32_e32 v17, v17, v84
	v_add_f32_e32 v25, v25, v85
	;; [unrolled: 1-line block ×3, first 2 shown]
	v_fmac_f32_e32 v37, 0x3f167918, v81
	v_add_f32_e32 v38, v38, v82
	v_fmac_f32_e32 v80, 0x3f737871, v39
	v_add_f32_e32 v17, v17, v89
	v_add_f32_e32 v25, v25, v86
	;; [unrolled: 1-line block ×4, first 2 shown]
	v_fmac_f32_e32 v37, 0x3e9e377a, v38
	v_fmac_f32_e32 v80, 0xbf167918, v81
	v_add_f32_e32 v25, v25, v93
	v_fmac_f32_e32 v80, 0x3e9e377a, v38
	s_waitcnt lgkmcnt(0)
	; wave barrier
	ds_write2_b64 v173, v[16:17], v[20:21] offset1:24
	ds_write2_b64 v173, v[22:23], v[12:13] offset0:48 offset1:72
	ds_write_b64 v173, v[18:19] offset:768
	ds_write2_b64 v174, v[24:25], v[28:29] offset1:24
	ds_write2_b64 v174, v[30:31], v[14:15] offset0:48 offset1:72
	ds_write_b64 v174, v[26:27] offset:768
	;; [unrolled: 3-line block ×3, first 2 shown]
	s_waitcnt lgkmcnt(0)
	; wave barrier
	s_waitcnt lgkmcnt(0)
	ds_read2_b64 v[12:15], v141 offset1:56
	ds_read2_b64 v[36:39], v141 offset0:120 offset1:176
	ds_read2_b64 v[32:35], v78 offset0:112 offset1:168
	;; [unrolled: 1-line block ×3, first 2 shown]
	v_add_u32_e32 v16, 0xc00, v141
	ds_read2_b64 v[24:27], v16 offset0:96 offset1:152
	ds_read2_b64 v[20:23], v76 offset0:88 offset1:144
	v_add_u32_e32 v16, 0x1400, v141
	ds_read2_b64 v[16:19], v16 offset0:80 offset1:136
	s_and_saveexec_b64 s[2:3], s[4:5]
	s_cbranch_execz .LBB0_35
; %bb.34:
	ds_read2_b64 v[72:75], v141 offset0:112 offset1:232
	ds_read2_b64 v[64:67], v77 offset0:96 offset1:216
	;; [unrolled: 1-line block ×3, first 2 shown]
	ds_read_b64 v[139:140], v141 offset:6656
.LBB0_35:
	s_or_b64 exec, exec, s[2:3]
	s_waitcnt lgkmcnt(5)
	v_mul_f32_e32 v76, v49, v37
	v_fmac_f32_e32 v76, v48, v36
	v_mul_f32_e32 v36, v49, v36
	v_fma_f32 v36, v48, v37, -v36
	s_waitcnt lgkmcnt(4)
	v_mul_f32_e32 v37, v51, v33
	v_fmac_f32_e32 v37, v50, v32
	v_mul_f32_e32 v32, v51, v32
	v_fma_f32 v32, v50, v33, -v32
	;; [unrolled: 5-line block ×6, first 2 shown]
	v_mul_f32_e32 v40, v53, v39
	v_mul_f32_e32 v17, v53, v38
	v_fmac_f32_e32 v40, v52, v38
	v_fma_f32 v38, v52, v39, -v17
	v_mul_f32_e32 v39, v55, v35
	v_mul_f32_e32 v17, v55, v34
	v_fmac_f32_e32 v39, v54, v34
	v_fma_f32 v34, v54, v35, -v17
	;; [unrolled: 4-line block ×3, first 2 shown]
	v_mul_f32_e32 v17, v63, v26
	v_fma_f32 v41, v62, v27, -v17
	v_mul_f32_e32 v17, v57, v22
	v_fma_f32 v43, v56, v23, -v17
	v_mul_f32_e32 v17, v59, v18
	v_mul_f32_e32 v31, v63, v27
	;; [unrolled: 1-line block ×4, first 2 shown]
	v_fma_f32 v45, v58, v19, -v17
	v_add_f32_e32 v17, v76, v21
	v_sub_f32_e32 v19, v76, v21
	v_add_f32_e32 v21, v37, v25
	v_fmac_f32_e32 v31, v62, v26
	v_fmac_f32_e32 v42, v56, v22
	;; [unrolled: 1-line block ×3, first 2 shown]
	v_add_f32_e32 v18, v36, v16
	v_add_f32_e32 v22, v32, v20
	v_sub_f32_e32 v23, v37, v25
	v_add_f32_e32 v25, v33, v29
	v_add_f32_e32 v26, v28, v24
	v_sub_f32_e32 v24, v24, v28
	v_add_f32_e32 v28, v21, v17
	v_sub_f32_e32 v20, v32, v20
	v_sub_f32_e32 v27, v29, v33
	v_add_f32_e32 v29, v22, v18
	v_sub_f32_e32 v32, v21, v17
	v_sub_f32_e32 v17, v17, v25
	;; [unrolled: 1-line block ×3, first 2 shown]
	v_add_f32_e32 v25, v25, v28
	v_sub_f32_e32 v33, v22, v18
	v_sub_f32_e32 v18, v18, v26
	;; [unrolled: 1-line block ×3, first 2 shown]
	v_add_f32_e32 v26, v26, v29
	v_add_f32_e32 v12, v12, v25
	v_sub_f32_e32 v16, v36, v16
	v_add_f32_e32 v36, v27, v23
	v_sub_f32_e32 v46, v27, v23
	v_sub_f32_e32 v23, v23, v19
	v_add_f32_e32 v13, v13, v26
	v_mov_b32_e32 v48, v12
	v_add_f32_e32 v37, v24, v20
	v_sub_f32_e32 v47, v24, v20
	v_sub_f32_e32 v27, v19, v27
	;; [unrolled: 1-line block ×3, first 2 shown]
	v_add_f32_e32 v19, v36, v19
	v_mul_f32_e32 v17, 0x3f4a47b2, v17
	v_mul_f32_e32 v18, 0x3f4a47b2, v18
	;; [unrolled: 1-line block ×5, first 2 shown]
	s_mov_b32 s12, 0xbf5ff5aa
	v_mul_f32_e32 v46, 0xbf5ff5aa, v23
	v_fmac_f32_e32 v48, 0xbf955555, v25
	v_mov_b32_e32 v25, v13
	s_mov_b32 s13, 0x3f3bfb3b
	s_mov_b32 s14, 0xbf3bfb3b
	;; [unrolled: 1-line block ×3, first 2 shown]
	v_sub_f32_e32 v24, v16, v24
	v_add_f32_e32 v16, v37, v16
	v_mul_f32_e32 v37, 0x3f08b237, v47
	v_mul_f32_e32 v47, 0xbf5ff5aa, v20
	v_fmac_f32_e32 v25, 0xbf955555, v26
	v_fma_f32 v26, v32, s13, -v28
	v_fma_f32 v28, v33, s13, -v29
	;; [unrolled: 1-line block ×3, first 2 shown]
	v_fmac_f32_e32 v17, 0x3d64c772, v21
	v_fma_f32 v21, v33, s14, -v18
	v_fmac_f32_e32 v18, 0x3d64c772, v22
	v_fma_f32 v23, v23, s12, -v36
	;; [unrolled: 2-line block ×3, first 2 shown]
	v_fma_f32 v22, v20, s12, -v37
	v_fmac_f32_e32 v37, 0xbeae86e6, v24
	v_fma_f32 v24, v24, s15, -v47
	v_add_f32_e32 v33, v18, v25
	v_add_f32_e32 v28, v28, v25
	;; [unrolled: 1-line block ×3, first 2 shown]
	v_fmac_f32_e32 v36, 0xbee1c552, v19
	v_fmac_f32_e32 v23, 0xbee1c552, v19
	;; [unrolled: 1-line block ×3, first 2 shown]
	v_add_f32_e32 v32, v17, v48
	v_add_f32_e32 v26, v26, v48
	;; [unrolled: 1-line block ×3, first 2 shown]
	v_fmac_f32_e32 v37, 0xbee1c552, v16
	v_fmac_f32_e32 v22, 0xbee1c552, v16
	;; [unrolled: 1-line block ×3, first 2 shown]
	v_sub_f32_e32 v17, v33, v36
	v_sub_f32_e32 v19, v25, v27
	v_add_f32_e32 v21, v23, v28
	v_sub_f32_e32 v23, v28, v23
	v_add_f32_e32 v25, v27, v25
	v_add_f32_e32 v27, v36, v33
	;; [unrolled: 1-line block ×6, first 2 shown]
	v_sub_f32_e32 v20, v26, v22
	v_add_f32_e32 v22, v22, v26
	v_sub_f32_e32 v24, v29, v24
	v_sub_f32_e32 v26, v32, v37
	v_add_f32_e32 v29, v38, v45
	v_sub_f32_e32 v33, v38, v45
	v_add_f32_e32 v37, v34, v43
	;; [unrolled: 2-line block ×6, first 2 shown]
	v_add_f32_e32 v35, v39, v35
	v_sub_f32_e32 v34, v34, v43
	v_sub_f32_e32 v42, v36, v28
	;; [unrolled: 1-line block ×4, first 2 shown]
	v_add_f32_e32 v39, v40, v41
	v_add_f32_e32 v14, v14, v35
	v_sub_f32_e32 v43, v37, v29
	v_sub_f32_e32 v29, v29, v40
	;; [unrolled: 1-line block ×3, first 2 shown]
	v_add_f32_e32 v44, v31, v38
	v_add_f32_e32 v45, v30, v34
	v_sub_f32_e32 v46, v31, v38
	v_sub_f32_e32 v47, v30, v34
	v_sub_f32_e32 v38, v38, v32
	v_sub_f32_e32 v34, v34, v33
	v_add_f32_e32 v15, v15, v39
	v_mov_b32_e32 v48, v14
	v_sub_f32_e32 v31, v32, v31
	v_sub_f32_e32 v30, v33, v30
	v_add_f32_e32 v32, v44, v32
	v_add_f32_e32 v33, v45, v33
	v_mul_f32_e32 v28, 0x3f4a47b2, v28
	v_mul_f32_e32 v29, 0x3f4a47b2, v29
	;; [unrolled: 1-line block ×8, first 2 shown]
	v_fmac_f32_e32 v48, 0xbf955555, v35
	v_mov_b32_e32 v35, v15
	v_fmac_f32_e32 v35, 0xbf955555, v39
	v_fma_f32 v39, v42, s13, -v40
	v_fma_f32 v40, v43, s13, -v41
	v_fma_f32 v41, v42, s14, -v28
	v_fmac_f32_e32 v28, 0x3d64c772, v36
	v_fma_f32 v36, v43, s14, -v29
	v_fmac_f32_e32 v29, 0x3d64c772, v37
	v_fma_f32 v37, v38, s12, -v44
	v_fmac_f32_e32 v44, 0xbeae86e6, v31
	v_fma_f32 v34, v34, s12, -v45
	v_fmac_f32_e32 v45, 0xbeae86e6, v30
	v_fma_f32 v38, v31, s15, -v46
	v_fma_f32 v42, v30, s15, -v47
	v_add_f32_e32 v43, v28, v48
	v_add_f32_e32 v46, v29, v35
	;; [unrolled: 1-line block ×6, first 2 shown]
	v_fmac_f32_e32 v44, 0xbee1c552, v32
	v_fmac_f32_e32 v45, 0xbee1c552, v33
	;; [unrolled: 1-line block ×6, first 2 shown]
	v_add_f32_e32 v28, v45, v43
	v_sub_f32_e32 v29, v46, v44
	v_add_f32_e32 v30, v42, v41
	v_sub_f32_e32 v31, v47, v38
	v_sub_f32_e32 v32, v39, v34
	v_add_f32_e32 v33, v37, v40
	v_add_f32_e32 v34, v34, v39
	v_sub_f32_e32 v35, v40, v37
	v_sub_f32_e32 v36, v41, v42
	v_add_f32_e32 v37, v38, v47
	v_sub_f32_e32 v38, v43, v45
	v_add_f32_e32 v39, v44, v46
	ds_write_b64 v141, v[16:17] offset:960
	ds_write_b64 v141, v[18:19] offset:1920
	;; [unrolled: 1-line block ×6, first 2 shown]
	ds_write2_b64 v141, v[12:13], v[14:15] offset1:56
	ds_write_b64 v141, v[28:29] offset:1408
	ds_write_b64 v141, v[30:31] offset:2368
	;; [unrolled: 1-line block ×6, first 2 shown]
	s_and_saveexec_b64 s[2:3], s[4:5]
	s_cbranch_execz .LBB0_37
; %bb.36:
	v_mul_f32_e32 v12, v1, v75
	v_mul_f32_e32 v13, v7, v140
	;; [unrolled: 1-line block ×4, first 2 shown]
	v_fmac_f32_e32 v12, v0, v74
	v_fmac_f32_e32 v13, v6, v139
	v_mul_f32_e32 v16, v9, v67
	v_fma_f32 v6, v6, v140, -v7
	v_fma_f32 v7, v0, v75, -v1
	v_mul_f32_e32 v0, v9, v66
	v_fmac_f32_e32 v16, v8, v66
	v_fma_f32 v8, v8, v67, -v0
	v_mul_f32_e32 v0, v11, v68
	v_fma_f32 v9, v10, v69, -v0
	v_add_f32_e32 v24, v6, v7
	v_add_f32_e32 v0, v8, v9
	v_mul_f32_e32 v15, v11, v69
	v_sub_f32_e32 v1, v24, v0
	v_fmac_f32_e32 v15, v10, v68
	v_mul_f32_e32 v20, v5, v71
	v_mul_f32_e32 v10, 0x3f4a47b2, v1
	;; [unrolled: 1-line block ×4, first 2 shown]
	v_fmac_f32_e32 v20, v4, v70
	v_fma_f32 v4, v4, v71, -v1
	v_mul_f32_e32 v1, v3, v64
	v_fmac_f32_e32 v19, v2, v64
	v_fma_f32 v2, v2, v65, -v1
	v_add_f32_e32 v5, v4, v2
	v_sub_f32_e32 v1, v0, v5
	v_mov_b32_e32 v3, v10
	v_mul_f32_e32 v11, 0x3d64c772, v1
	v_fmac_f32_e32 v3, 0x3d64c772, v1
	v_add_f32_e32 v1, v5, v24
	v_add_f32_e32 v0, v0, v1
	;; [unrolled: 1-line block ×3, first 2 shown]
	v_mov_b32_e32 v25, v1
	v_sub_f32_e32 v14, v12, v13
	v_fmac_f32_e32 v25, 0xbf955555, v0
	v_add_f32_e32 v12, v13, v12
	v_add_f32_e32 v0, v16, v15
	v_sub_f32_e32 v13, v12, v0
	v_sub_f32_e32 v17, v15, v16
	v_mul_f32_e32 v13, 0x3f4a47b2, v13
	v_add_f32_e32 v15, v20, v19
	v_sub_f32_e32 v21, v19, v20
	v_sub_f32_e32 v16, v0, v15
	v_mov_b32_e32 v20, v13
	v_mul_f32_e32 v19, 0x3d64c772, v16
	v_fmac_f32_e32 v20, 0x3d64c772, v16
	v_add_f32_e32 v16, v15, v12
	v_add_f32_e32 v16, v0, v16
	v_sub_f32_e32 v6, v7, v6
	v_sub_f32_e32 v7, v9, v8
	v_sub_f32_e32 v4, v2, v4
	v_sub_f32_e32 v22, v17, v21
	v_add_f32_e32 v0, v72, v16
	v_sub_f32_e32 v2, v7, v4
	v_sub_f32_e32 v18, v14, v17
	v_mul_f32_e32 v22, 0x3f08b237, v22
	v_add_f32_e32 v17, v17, v21
	v_mov_b32_e32 v27, v0
	v_sub_f32_e32 v8, v6, v7
	v_mul_f32_e32 v9, 0x3f08b237, v2
	v_add_f32_e32 v2, v7, v4
	v_sub_f32_e32 v7, v21, v14
	v_mov_b32_e32 v23, v22
	v_add_f32_e32 v17, v17, v14
	v_fmac_f32_e32 v27, 0xbf955555, v16
	v_add_f32_e32 v28, v2, v6
	v_mul_f32_e32 v14, 0xbf5ff5aa, v7
	v_sub_f32_e32 v6, v4, v6
	v_fmac_f32_e32 v23, 0xbeae86e6, v18
	v_add_f32_e32 v16, v20, v27
	v_mov_b32_e32 v20, v9
	v_fma_f32 v14, v18, s15, -v14
	v_sub_f32_e32 v18, v5, v24
	v_mul_f32_e32 v4, 0xbf5ff5aa, v6
	v_fmac_f32_e32 v20, 0xbeae86e6, v8
	v_sub_f32_e32 v12, v15, v12
	v_fma_f32 v15, v8, s15, -v4
	v_fma_f32 v8, v18, s13, -v11
	;; [unrolled: 1-line block ×3, first 2 shown]
	v_fmac_f32_e32 v23, 0xbee1c552, v17
	v_fmac_f32_e32 v14, 0xbee1c552, v17
	v_fma_f32 v5, v18, s14, -v10
	v_fma_f32 v13, v12, s14, -v13
	v_fmac_f32_e32 v11, 0xbee1c552, v17
	v_fma_f32 v17, v6, s12, -v9
	v_fma_f32 v6, v12, s13, -v19
	v_add_f32_e32 v26, v3, v25
	v_fmac_f32_e32 v20, 0xbee1c552, v28
	v_add_f32_e32 v10, v5, v25
	v_add_f32_e32 v13, v13, v27
	v_fmac_f32_e32 v15, 0xbee1c552, v28
	v_add_f32_e32 v8, v8, v25
	v_fmac_f32_e32 v17, 0xbee1c552, v28
	v_add_f32_e32 v12, v6, v27
	v_add_f32_e32 v5, v14, v10
	v_sub_f32_e32 v4, v13, v15
	v_sub_f32_e32 v7, v8, v11
	v_add_f32_e32 v6, v17, v12
	v_add_f32_e32 v9, v11, v8
	v_sub_f32_e32 v8, v12, v17
	v_sub_f32_e32 v11, v10, v14
	v_add_f32_e32 v10, v15, v13
	v_sub_f32_e32 v13, v26, v23
	v_add_f32_e32 v12, v20, v16
	ds_write2_b64 v141, v[0:1], v[12:13] offset0:112 offset1:232
	v_add_u32_e32 v0, 0x800, v141
	ds_write2_b64 v0, v[10:11], v[8:9] offset0:96 offset1:216
	v_add_u32_e32 v0, 0x1000, v141
	v_add_f32_e32 v3, v23, v26
	v_sub_f32_e32 v2, v16, v20
	ds_write2_b64 v0, v[6:7], v[4:5] offset0:80 offset1:200
	ds_write_b64 v141, v[2:3] offset:6656
.LBB0_37:
	s_or_b64 exec, exec, s[2:3]
	s_waitcnt lgkmcnt(0)
	; wave barrier
	s_waitcnt lgkmcnt(0)
	ds_read2_b64 v[0:3], v141 offset1:56
	v_mad_u64_u32 v[8:9], s[2:3], s10, v124, 0
	s_mov_b32 s2, 0x13813814
	s_mov_b32 s3, 0x3f538138
	s_waitcnt lgkmcnt(0)
	v_mul_f32_e32 v4, v134, v1
	v_fmac_f32_e32 v4, v133, v0
	v_cvt_f64_f32_e32 v[4:5], v4
	v_mul_f32_e32 v0, v134, v0
	v_fma_f32 v0, v133, v1, -v0
	v_cvt_f64_f32_e32 v[0:1], v0
	v_mul_f64 v[4:5], v[4:5], s[2:3]
	v_mad_u64_u32 v[10:11], s[4:5], s8, v142, 0
	v_mov_b32_e32 v6, v9
	v_mad_u64_u32 v[6:7], s[4:5], s11, v124, v[6:7]
	v_mul_f64 v[0:1], v[0:1], s[2:3]
	v_add_u32_e32 v18, 0x1000, v141
	v_cvt_f32_f64_e32 v12, v[4:5]
	v_mov_b32_e32 v4, v11
	v_mad_u64_u32 v[14:15], s[4:5], s9, v142, v[4:5]
	v_add_u32_e32 v4, 0x800, v141
	v_mov_b32_e32 v9, v6
	ds_read2_b64 v[4:7], v4 offset0:80 offset1:164
	v_cvt_f32_f64_e32 v13, v[0:1]
	v_lshlrev_b64 v[0:1], 3, v[8:9]
	v_mov_b32_e32 v11, v14
	v_mov_b32_e32 v14, s7
	s_waitcnt lgkmcnt(0)
	v_mul_f32_e32 v8, v132, v7
	v_fmac_f32_e32 v8, v131, v6
	v_mul_f32_e32 v6, v132, v6
	v_fma_f32 v6, v131, v7, -v6
	v_cvt_f64_f32_e32 v[8:9], v8
	v_cvt_f64_f32_e32 v[6:7], v6
	v_add_co_u32_e32 v15, vcc, s6, v0
	v_addc_co_u32_e32 v14, vcc, v14, v1, vcc
	v_mul_f64 v[0:1], v[8:9], s[2:3]
	v_mul_f64 v[6:7], v[6:7], s[2:3]
	v_lshlrev_b64 v[8:9], 3, v[10:11]
	s_mul_i32 s4, s9, 0x1a4
	s_mul_hi_u32 s5, s8, 0x1a4
	v_add_co_u32_e32 v8, vcc, v15, v8
	s_add_i32 s5, s5, s4
	v_cvt_f32_f64_e32 v0, v[0:1]
	v_cvt_f32_f64_e32 v1, v[6:7]
	v_mul_f32_e32 v6, v130, v3
	v_fmac_f32_e32 v6, v129, v2
	v_mul_f32_e32 v2, v130, v2
	v_fma_f32 v2, v129, v3, -v2
	v_cvt_f64_f32_e32 v[2:3], v2
	v_cvt_f64_f32_e32 v[6:7], v6
	s_mul_i32 s4, s8, 0x1a4
	v_addc_co_u32_e32 v9, vcc, v14, v9, vcc
	v_mul_f64 v[2:3], v[2:3], s[2:3]
	s_lshl_b64 s[4:5], s[4:5], 3
	v_mul_f64 v[6:7], v[6:7], s[2:3]
	v_mov_b32_e32 v16, s5
	v_add_co_u32_e32 v10, vcc, s4, v8
	v_addc_co_u32_e32 v11, vcc, v9, v16, vcc
	global_store_dwordx2 v[8:9], v[12:13], off
	global_store_dwordx2 v[10:11], v[0:1], off
	v_add_u32_e32 v0, 0xc00, v141
	v_cvt_f32_f64_e32 v13, v[2:3]
	ds_read2_b64 v[0:3], v0 offset0:92 offset1:148
	v_cvt_f32_f64_e32 v12, v[6:7]
	s_mul_hi_u32 s7, s8, 0xfffffe94
	s_mul_i32 s6, s9, 0xfffffe94
	s_sub_i32 s7, s7, s8
	s_waitcnt lgkmcnt(0)
	v_mul_f32_e32 v6, v126, v1
	v_fmac_f32_e32 v6, v125, v0
	v_mul_f32_e32 v0, v126, v0
	v_fma_f32 v0, v125, v1, -v0
	v_cvt_f64_f32_e32 v[0:1], v0
	v_cvt_f64_f32_e32 v[6:7], v6
	s_add_i32 s7, s7, s6
	s_mul_i32 s6, s8, 0xfffffe94
	v_mul_f64 v[0:1], v[0:1], s[2:3]
	v_mul_f64 v[14:15], v[6:7], s[2:3]
	ds_read2_b64 v[6:9], v141 offset0:112 offset1:168
	s_lshl_b64 s[6:7], s[6:7], 3
	v_mov_b32_e32 v17, s7
	v_add_co_u32_e32 v10, vcc, s6, v10
	v_addc_co_u32_e32 v11, vcc, v11, v17, vcc
	global_store_dwordx2 v[10:11], v[12:13], off
	v_cvt_f32_f64_e32 v13, v[0:1]
	s_waitcnt lgkmcnt(0)
	v_mul_f32_e32 v0, v128, v7
	v_fmac_f32_e32 v0, v127, v6
	v_mul_f32_e32 v6, v128, v6
	v_fma_f32 v6, v127, v7, -v6
	v_cvt_f64_f32_e32 v[0:1], v0
	v_cvt_f64_f32_e32 v[6:7], v6
	v_cvt_f32_f64_e32 v12, v[14:15]
	v_mul_f32_e32 v14, v123, v3
	v_mul_f64 v[0:1], v[0:1], s[2:3]
	v_mul_f64 v[6:7], v[6:7], s[2:3]
	v_fmac_f32_e32 v14, v122, v2
	v_cvt_f64_f32_e32 v[14:15], v14
	v_mul_f32_e32 v2, v123, v2
	v_fma_f32 v2, v122, v3, -v2
	v_add_co_u32_e32 v10, vcc, s4, v10
	v_cvt_f64_f32_e32 v[2:3], v2
	v_addc_co_u32_e32 v11, vcc, v11, v16, vcc
	global_store_dwordx2 v[10:11], v[12:13], off
	v_mul_f64 v[12:13], v[14:15], s[2:3]
	v_cvt_f32_f64_e32 v0, v[0:1]
	v_mul_f64 v[2:3], v[2:3], s[2:3]
	v_cvt_f32_f64_e32 v1, v[6:7]
	v_add_co_u32_e32 v6, vcc, s6, v10
	v_addc_co_u32_e32 v7, vcc, v11, v17, vcc
	global_store_dwordx2 v[6:7], v[0:1], off
	v_mul_f32_e32 v0, v121, v9
	v_fmac_f32_e32 v0, v120, v8
	v_cvt_f32_f64_e32 v10, v[12:13]
	v_cvt_f64_f32_e32 v[12:13], v0
	v_mul_f32_e32 v0, v121, v8
	v_fma_f32 v0, v120, v9, -v0
	v_cvt_f32_f64_e32 v11, v[2:3]
	v_cvt_f64_f32_e32 v[8:9], v0
	ds_read2_b64 v[0:3], v18 offset0:76 offset1:132
	v_add_co_u32_e32 v6, vcc, s4, v6
	v_addc_co_u32_e32 v7, vcc, v7, v16, vcc
	global_store_dwordx2 v[6:7], v[10:11], off
	v_mul_f64 v[10:11], v[12:13], s[2:3]
	s_waitcnt lgkmcnt(0)
	v_mul_f32_e32 v12, v119, v1
	v_fmac_f32_e32 v12, v118, v0
	v_mul_f32_e32 v0, v119, v0
	v_mul_f64 v[8:9], v[8:9], s[2:3]
	v_fma_f32 v0, v118, v1, -v0
	v_cvt_f64_f32_e32 v[0:1], v0
	v_add_co_u32_e32 v14, vcc, s6, v6
	v_add_u32_e32 v6, 0x400, v141
	v_mul_f64 v[0:1], v[0:1], s[2:3]
	v_cvt_f32_f64_e32 v10, v[10:11]
	v_cvt_f32_f64_e32 v11, v[8:9]
	v_addc_co_u32_e32 v15, vcc, v7, v17, vcc
	ds_read2_b64 v[6:9], v6 offset0:96 offset1:152
	v_cvt_f64_f32_e32 v[12:13], v12
	global_store_dwordx2 v[14:15], v[10:11], off
	v_cvt_f32_f64_e32 v11, v[0:1]
	s_movk_i32 s8, 0x1000
	v_mul_f64 v[12:13], v[12:13], s[2:3]
	s_waitcnt lgkmcnt(0)
	v_mul_f32_e32 v0, v117, v7
	v_fmac_f32_e32 v0, v116, v6
	v_mul_f32_e32 v6, v117, v6
	v_fma_f32 v6, v116, v7, -v6
	v_cvt_f64_f32_e32 v[0:1], v0
	v_cvt_f64_f32_e32 v[6:7], v6
	v_cvt_f32_f64_e32 v10, v[12:13]
	v_mul_f64 v[0:1], v[0:1], s[2:3]
	v_mul_f64 v[6:7], v[6:7], s[2:3]
	v_add_co_u32_e32 v12, vcc, s4, v14
	v_mul_f32_e32 v14, v115, v3
	v_fmac_f32_e32 v14, v114, v2
	v_mul_f32_e32 v2, v115, v2
	v_fma_f32 v2, v114, v3, -v2
	v_addc_co_u32_e32 v13, vcc, v15, v16, vcc
	v_cvt_f64_f32_e32 v[14:15], v14
	v_cvt_f64_f32_e32 v[2:3], v2
	global_store_dwordx2 v[12:13], v[10:11], off
	v_cvt_f32_f64_e32 v0, v[0:1]
	v_mul_f64 v[10:11], v[14:15], s[2:3]
	v_mul_f64 v[2:3], v[2:3], s[2:3]
	v_cvt_f32_f64_e32 v1, v[6:7]
	v_add_co_u32_e32 v6, vcc, s6, v12
	v_addc_co_u32_e32 v7, vcc, v13, v17, vcc
	global_store_dwordx2 v[6:7], v[0:1], off
	v_mul_f32_e32 v0, v113, v9
	v_fmac_f32_e32 v0, v112, v8
	v_cvt_f64_f32_e32 v[12:13], v0
	v_mul_f32_e32 v0, v113, v8
	v_fma_f32 v0, v112, v9, -v0
	v_cvt_f32_f64_e32 v10, v[10:11]
	v_cvt_f32_f64_e32 v11, v[2:3]
	v_cvt_f64_f32_e32 v[8:9], v0
	ds_read2_b64 v[0:3], v18 offset0:188 offset1:244
	v_mul_f64 v[12:13], v[12:13], s[2:3]
	v_add_co_u32_e32 v6, vcc, s4, v6
	v_mul_f64 v[8:9], v[8:9], s[2:3]
	s_waitcnt lgkmcnt(0)
	v_mul_f32_e32 v14, v111, v1
	v_fmac_f32_e32 v14, v110, v0
	v_mul_f32_e32 v0, v111, v0
	v_fma_f32 v0, v110, v1, -v0
	v_cvt_f64_f32_e32 v[0:1], v0
	v_cvt_f64_f32_e32 v[14:15], v14
	v_addc_co_u32_e32 v7, vcc, v7, v16, vcc
	v_mul_f64 v[0:1], v[0:1], s[2:3]
	global_store_dwordx2 v[6:7], v[10:11], off
	v_cvt_f32_f64_e32 v10, v[12:13]
	v_mul_f64 v[12:13], v[14:15], s[2:3]
	v_cvt_f32_f64_e32 v11, v[8:9]
	v_add_co_u32_e32 v6, vcc, s6, v6
	v_addc_co_u32_e32 v7, vcc, v7, v17, vcc
	v_cvt_f32_f64_e32 v9, v[0:1]
	v_mul_f32_e32 v0, v109, v5
	v_fmac_f32_e32 v0, v108, v4
	v_mul_f32_e32 v4, v109, v4
	global_store_dwordx2 v[6:7], v[10:11], off
	v_fma_f32 v4, v108, v5, -v4
	v_mul_f32_e32 v10, v107, v3
	v_cvt_f64_f32_e32 v[0:1], v0
	v_cvt_f64_f32_e32 v[4:5], v4
	v_fmac_f32_e32 v10, v106, v2
	v_mul_f32_e32 v2, v107, v2
	v_fma_f32 v2, v106, v3, -v2
	v_cvt_f32_f64_e32 v8, v[12:13]
	v_cvt_f64_f32_e32 v[10:11], v10
	v_cvt_f64_f32_e32 v[2:3], v2
	v_add_co_u32_e32 v6, vcc, s4, v6
	v_mul_f64 v[0:1], v[0:1], s[2:3]
	v_mul_f64 v[4:5], v[4:5], s[2:3]
	v_addc_co_u32_e32 v7, vcc, v7, v16, vcc
	global_store_dwordx2 v[6:7], v[8:9], off
	v_mul_f64 v[8:9], v[10:11], s[2:3]
	v_mul_f64 v[2:3], v[2:3], s[2:3]
	v_cvt_f32_f64_e32 v0, v[0:1]
	v_cvt_f32_f64_e32 v1, v[4:5]
	v_add_co_u32_e32 v4, vcc, s6, v6
	v_addc_co_u32_e32 v5, vcc, v7, v17, vcc
	v_cvt_f32_f64_e32 v6, v[8:9]
	v_cvt_f32_f64_e32 v7, v[2:3]
	global_store_dwordx2 v[4:5], v[0:1], off
	v_add_co_u32_e32 v0, vcc, s4, v4
	v_addc_co_u32_e32 v1, vcc, v5, v16, vcc
	global_store_dwordx2 v[0:1], v[6:7], off
	s_and_b64 exec, exec, s[0:1]
	s_cbranch_execz .LBB0_39
; %bb.38:
	global_load_dwordx2 v[2:3], v[104:105], off offset:3136
	ds_read_b64 v[4:5], v141 offset:3136
	ds_read_b64 v[6:7], v141 offset:6496
	v_mov_b32_e32 v10, s7
	s_waitcnt vmcnt(0) lgkmcnt(1)
	v_mul_f32_e32 v8, v5, v3
	v_mul_f32_e32 v3, v4, v3
	v_fmac_f32_e32 v8, v4, v2
	v_fma_f32 v4, v2, v5, -v3
	v_cvt_f64_f32_e32 v[2:3], v8
	v_cvt_f64_f32_e32 v[4:5], v4
	v_add_co_u32_e32 v8, vcc, s8, v104
	v_mul_f64 v[2:3], v[2:3], s[2:3]
	v_mul_f64 v[4:5], v[4:5], s[2:3]
	v_addc_co_u32_e32 v9, vcc, 0, v105, vcc
	v_add_co_u32_e32 v0, vcc, s6, v0
	v_addc_co_u32_e32 v1, vcc, v1, v10, vcc
	v_cvt_f32_f64_e32 v2, v[2:3]
	v_cvt_f32_f64_e32 v3, v[4:5]
	global_store_dwordx2 v[0:1], v[2:3], off
	global_load_dwordx2 v[2:3], v[8:9], off offset:2400
	v_add_co_u32_e32 v0, vcc, s4, v0
	s_waitcnt vmcnt(0) lgkmcnt(0)
	v_mul_f32_e32 v4, v7, v3
	v_mul_f32_e32 v3, v6, v3
	v_fmac_f32_e32 v4, v6, v2
	v_fma_f32 v5, v2, v7, -v3
	v_cvt_f64_f32_e32 v[2:3], v4
	v_cvt_f64_f32_e32 v[4:5], v5
	v_mov_b32_e32 v6, s5
	v_addc_co_u32_e32 v1, vcc, v1, v6, vcc
	v_mul_f64 v[2:3], v[2:3], s[2:3]
	v_mul_f64 v[4:5], v[4:5], s[2:3]
	v_cvt_f32_f64_e32 v2, v[2:3]
	v_cvt_f32_f64_e32 v3, v[4:5]
	global_store_dwordx2 v[0:1], v[2:3], off
.LBB0_39:
	s_endpgm
	.section	.rodata,"a",@progbits
	.p2align	6, 0x0
	.amdhsa_kernel bluestein_single_fwd_len840_dim1_sp_op_CI_CI
		.amdhsa_group_segment_fixed_size 6720
		.amdhsa_private_segment_fixed_size 0
		.amdhsa_kernarg_size 104
		.amdhsa_user_sgpr_count 6
		.amdhsa_user_sgpr_private_segment_buffer 1
		.amdhsa_user_sgpr_dispatch_ptr 0
		.amdhsa_user_sgpr_queue_ptr 0
		.amdhsa_user_sgpr_kernarg_segment_ptr 1
		.amdhsa_user_sgpr_dispatch_id 0
		.amdhsa_user_sgpr_flat_scratch_init 0
		.amdhsa_user_sgpr_private_segment_size 0
		.amdhsa_uses_dynamic_stack 0
		.amdhsa_system_sgpr_private_segment_wavefront_offset 0
		.amdhsa_system_sgpr_workgroup_id_x 1
		.amdhsa_system_sgpr_workgroup_id_y 0
		.amdhsa_system_sgpr_workgroup_id_z 0
		.amdhsa_system_sgpr_workgroup_info 0
		.amdhsa_system_vgpr_workitem_id 0
		.amdhsa_next_free_vgpr 210
		.amdhsa_next_free_sgpr 20
		.amdhsa_reserve_vcc 1
		.amdhsa_reserve_flat_scratch 0
		.amdhsa_float_round_mode_32 0
		.amdhsa_float_round_mode_16_64 0
		.amdhsa_float_denorm_mode_32 3
		.amdhsa_float_denorm_mode_16_64 3
		.amdhsa_dx10_clamp 1
		.amdhsa_ieee_mode 1
		.amdhsa_fp16_overflow 0
		.amdhsa_exception_fp_ieee_invalid_op 0
		.amdhsa_exception_fp_denorm_src 0
		.amdhsa_exception_fp_ieee_div_zero 0
		.amdhsa_exception_fp_ieee_overflow 0
		.amdhsa_exception_fp_ieee_underflow 0
		.amdhsa_exception_fp_ieee_inexact 0
		.amdhsa_exception_int_div_zero 0
	.end_amdhsa_kernel
	.text
.Lfunc_end0:
	.size	bluestein_single_fwd_len840_dim1_sp_op_CI_CI, .Lfunc_end0-bluestein_single_fwd_len840_dim1_sp_op_CI_CI
                                        ; -- End function
	.section	.AMDGPU.csdata,"",@progbits
; Kernel info:
; codeLenInByte = 15916
; NumSgprs: 24
; NumVgprs: 210
; ScratchSize: 0
; MemoryBound: 0
; FloatMode: 240
; IeeeMode: 1
; LDSByteSize: 6720 bytes/workgroup (compile time only)
; SGPRBlocks: 2
; VGPRBlocks: 52
; NumSGPRsForWavesPerEU: 24
; NumVGPRsForWavesPerEU: 210
; Occupancy: 1
; WaveLimiterHint : 1
; COMPUTE_PGM_RSRC2:SCRATCH_EN: 0
; COMPUTE_PGM_RSRC2:USER_SGPR: 6
; COMPUTE_PGM_RSRC2:TRAP_HANDLER: 0
; COMPUTE_PGM_RSRC2:TGID_X_EN: 1
; COMPUTE_PGM_RSRC2:TGID_Y_EN: 0
; COMPUTE_PGM_RSRC2:TGID_Z_EN: 0
; COMPUTE_PGM_RSRC2:TIDIG_COMP_CNT: 0
	.type	__hip_cuid_e0235831199b423b,@object ; @__hip_cuid_e0235831199b423b
	.section	.bss,"aw",@nobits
	.globl	__hip_cuid_e0235831199b423b
__hip_cuid_e0235831199b423b:
	.byte	0                               ; 0x0
	.size	__hip_cuid_e0235831199b423b, 1

	.ident	"AMD clang version 19.0.0git (https://github.com/RadeonOpenCompute/llvm-project roc-6.4.0 25133 c7fe45cf4b819c5991fe208aaa96edf142730f1d)"
	.section	".note.GNU-stack","",@progbits
	.addrsig
	.addrsig_sym __hip_cuid_e0235831199b423b
	.amdgpu_metadata
---
amdhsa.kernels:
  - .args:
      - .actual_access:  read_only
        .address_space:  global
        .offset:         0
        .size:           8
        .value_kind:     global_buffer
      - .actual_access:  read_only
        .address_space:  global
        .offset:         8
        .size:           8
        .value_kind:     global_buffer
      - .actual_access:  read_only
        .address_space:  global
        .offset:         16
        .size:           8
        .value_kind:     global_buffer
      - .actual_access:  read_only
        .address_space:  global
        .offset:         24
        .size:           8
        .value_kind:     global_buffer
      - .actual_access:  read_only
        .address_space:  global
        .offset:         32
        .size:           8
        .value_kind:     global_buffer
      - .offset:         40
        .size:           8
        .value_kind:     by_value
      - .address_space:  global
        .offset:         48
        .size:           8
        .value_kind:     global_buffer
      - .address_space:  global
        .offset:         56
        .size:           8
        .value_kind:     global_buffer
      - .address_space:  global
        .offset:         64
        .size:           8
        .value_kind:     global_buffer
      - .address_space:  global
        .offset:         72
        .size:           8
        .value_kind:     global_buffer
      - .offset:         80
        .size:           4
        .value_kind:     by_value
      - .address_space:  global
        .offset:         88
        .size:           8
        .value_kind:     global_buffer
      - .address_space:  global
        .offset:         96
        .size:           8
        .value_kind:     global_buffer
    .group_segment_fixed_size: 6720
    .kernarg_segment_align: 8
    .kernarg_segment_size: 104
    .language:       OpenCL C
    .language_version:
      - 2
      - 0
    .max_flat_workgroup_size: 56
    .name:           bluestein_single_fwd_len840_dim1_sp_op_CI_CI
    .private_segment_fixed_size: 0
    .sgpr_count:     24
    .sgpr_spill_count: 0
    .symbol:         bluestein_single_fwd_len840_dim1_sp_op_CI_CI.kd
    .uniform_work_group_size: 1
    .uses_dynamic_stack: false
    .vgpr_count:     210
    .vgpr_spill_count: 0
    .wavefront_size: 64
amdhsa.target:   amdgcn-amd-amdhsa--gfx906
amdhsa.version:
  - 1
  - 2
...

	.end_amdgpu_metadata
